;; amdgpu-corpus repo=ROCm/aiter kind=harvested arch=n/a opt=n/a

/root/src/amdgpu-assembly/repos/ROCm__aiter/hsa/gfx942/fmoe/silu/fmoe_fp16_pertokenFp8_g1u1_vs_silu_1tg_32x384.co:	file format elf64-amdgpu

Disassembly of section .text:

0000000000002e00 <_ZN5aiter45fmoe_fp16_pertokenFp8_g1u1_vs_silu_1tg_32x384E>:
	s_and_b32 s1, s1, 0xffff                                   // 000000002E00: 8601FF01 0000FFFF
	s_load_dwordx2 s[8:9], s[0:1], 0x0                         // 000000002E08: C0060200 00000000
	s_load_dwordx2 s[20:21], s[0:1], 0x10                      // 000000002E10: C0060500 00000010
	s_load_dwordx2 s[24:25], s[0:1], 0x20                      // 000000002E18: C0060600 00000020
	s_load_dwordx2 s[50:51], s[0:1], 0x30                      // 000000002E20: C0060C80 00000030
	s_load_dwordx2 s[12:13], s[0:1], 0x40                      // 000000002E28: C0060300 00000040
	s_load_dwordx2 s[28:29], s[0:1], 0x50                      // 000000002E30: C0060700 00000050
	s_load_dwordx2 s[32:33], s[0:1], 0x60                      // 000000002E38: C0060800 00000060
	s_load_dwordx2 s[16:17], s[0:1], 0x70                      // 000000002E40: C0060400 00000070
	s_load_dwordx2 s[36:37], s[0:1], 0x80                      // 000000002E48: C0060900 00000080
	s_load_dwordx2 s[44:45], s[0:1], 0x90                      // 000000002E50: C0060B00 00000090
	s_load_dwordx2 s[40:41], s[0:1], 0xa0                      // 000000002E58: C0060A00 000000A0
	s_load_dwordx2 s[46:47], s[0:1], 0xb0                      // 000000002E60: C0060B80 000000B0
	s_load_dword s64, s[0:1], 0xc0                             // 000000002E68: C0021000 000000C0
	s_load_dword s65, s[0:1], 0xd0                             // 000000002E70: C0021040 000000D0
	s_load_dword s66, s[0:1], 0xe0                             // 000000002E78: C0021080 000000E0
	s_load_dword s67, s[0:1], 0xf0                             // 000000002E80: C00210C0 000000F0
	s_load_dword s68, s[0:1], 0x100                            // 000000002E88: C0021100 00000100
	s_load_dword s69, s[0:1], 0x110                            // 000000002E90: C0021140 00000110
	s_load_dword s70, s[0:1], 0x120                            // 000000002E98: C0021180 00000120
	s_load_dword s71, s[0:1], 0x130                            // 000000002EA0: C00211C0 00000130
	s_load_dword s72, s[0:1], 0x140                            // 000000002EA8: C0021200 00000140
	s_load_dword s73, s[0:1], 0x150                            // 000000002EB0: C0021240 00000150
	s_load_dword s74, s[0:1], 0x160                            // 000000002EB8: C0021280 00000160
	s_load_dword s75, s[0:1], 0x170                            // 000000002EC0: C00212C0 00000170
	s_load_dword s76, s[0:1], 0x180                            // 000000002EC8: C0021300 00000180
	v_lshrrev_b32_e32 v1, 10, v0                               // 000000002ED0: 2002008A
	v_lshrrev_b32_e32 v2, 10, v1                               // 000000002ED4: 2004028A
	v_and_b32_e32 v2, 0x3ff, v2                                // 000000002ED8: 260404FF 000003FF
	v_and_b32_e32 v1, 0x3ff, v1                                // 000000002EE0: 260202FF 000003FF
	v_and_b32_e32 v0, 0x3ff, v0                                // 000000002EE8: 260000FF 000003FF
	v_lshrrev_b32_e32 v3, 6, v0                                // 000000002EF0: 20060086
	v_and_b32_e32 v0, 63, v0                                   // 000000002EF4: 260000BF
	s_mov_b32 s2, s2                                           // 000000002EF8: BE820002
	s_mov_b32 s3, s3                                           // 000000002EFC: BE830003
	s_mov_b32 s4, s4                                           // 000000002F00: BE840004
	v_readfirstlane_b32 s7, v3                                 // 000000002F04: 7E0E0503
	s_waitcnt lgkmcnt(0)                                       // 000000002F08: BF8CC07F
	s_and_b32 s51, s51, 0xffff                                 // 000000002F0C: 8633FF33 0000FFFF
	s_load_dword s50, s[50:51], 0x0                            // 000000002F14: C0020C99 00000000
	s_and_b32 s45, s45, 0xffff                                 // 000000002F1C: 862DFF2D 0000FFFF
	s_and_b32 s47, s47, 0xffff                                 // 000000002F24: 862FFF2F 0000FFFF
	s_and_b32 s9, s9, 0xffff                                   // 000000002F2C: 8609FF09 0000FFFF
	s_mul_i32 s60, s66, s68                                    // 000000002F34: 923C4442
	s_mul_i32 s61, s66, 4                                      // 000000002F38: 923D8442
	s_mov_b32 s22, s60                                         // 000000002F3C: BE96003C
	s_mov_b32 s26, -16                                         // 000000002F40: BE9A00D0
	s_mov_b32 s14, -16                                         // 000000002F44: BE8E00D0
	s_mov_b32 s42, -16                                         // 000000002F48: BEAA00D0
	s_mov_b32 s30, s61                                         // 000000002F4C: BE9E003D
	s_mov_b32 s34, 0x600                                       // 000000002F50: BEA200FF 00000600
	s_mov_b32 s38, 0x600                                       // 000000002F58: BEA600FF 00000600
	s_mov_b32 s18, -16                                         // 000000002F60: BE9200D0
	s_mov_b32 s23, 0x20000                                     // 000000002F64: BE9700FF 00020000
	s_mov_b32 s27, 0x20000                                     // 000000002F6C: BE9B00FF 00020000
	s_mov_b32 s15, 0x20000                                     // 000000002F74: BE8F00FF 00020000
	s_mov_b32 s43, 0x20000                                     // 000000002F7C: BEAB00FF 00020000
	s_mov_b32 s31, 0x20000                                     // 000000002F84: BE9F00FF 00020000
	s_mov_b32 s35, 0x20000                                     // 000000002F8C: BEA300FF 00020000
	s_mov_b32 s39, 0x20000                                     // 000000002F94: BEA700FF 00020000
	s_mov_b32 s19, 0x20000                                     // 000000002F9C: BE9300FF 00020000
	s_and_b32 s21, s21, 0xffff                                 // 000000002FA4: 8615FF15 0000FFFF
	s_and_b32 s25, s25, 0xffff                                 // 000000002FAC: 8619FF19 0000FFFF
	s_and_b32 s13, s13, 0xffff                                 // 000000002FB4: 860DFF0D 0000FFFF
	s_and_b32 s41, s41, 0xffff                                 // 000000002FBC: 8629FF29 0000FFFF
	s_and_b32 s29, s29, 0xffff                                 // 000000002FC4: 861DFF1D 0000FFFF
	s_and_b32 s33, s33, 0xffff                                 // 000000002FCC: 8621FF21 0000FFFF
	s_and_b32 s37, s37, 0xffff                                 // 000000002FD4: 8625FF25 0000FFFF
	s_and_b32 s17, s17, 0xffff                                 // 000000002FDC: 8611FF11 0000FFFF
	s_or_b32 s21, s21, 0x40000                                 // 000000002FE4: 8715FF15 00040000
	s_or_b32 s25, s25, 0x40000                                 // 000000002FEC: 8719FF19 00040000
	s_or_b32 s13, s13, 0x40000                                 // 000000002FF4: 870DFF0D 00040000
	s_or_b32 s41, s41, 0x40000                                 // 000000002FFC: 8729FF29 00040000
	s_or_b32 s29, s29, 0x40000                                 // 000000003004: 871DFF1D 00040000
	s_or_b32 s33, s33, 0x40000                                 // 00000000300C: 8721FF21 00040000
	s_or_b32 s37, s37, 0x40000                                 // 000000003014: 8725FF25 00040000
	s_or_b32 s17, s17, 0x40000                                 // 00000000301C: 8711FF11 00040000
	v_accvgpr_write_b32 a191, 0                                // 000000003024: D3D940BF 18000080
	v_mov_b32_e32 v239, 0                                      // 00000000302C: 7FDE0280
	s_waitcnt lgkmcnt(0)                                       // 000000003030: BF8CC07F
	s_mul_i32 s60, s3, 32                                      // 000000003034: 923CA003
	s_cmp_lt_i32 s60, s50                                      // 000000003038: BF04323C
	s_cbranch_scc0 label_1E42                                  // 00000000303C: BF841DB2
	s_mov_b32 s80, 0                                           // 000000003040: BED00080
	s_mov_b32 s81, s64                                         // 000000003044: BED10040
	s_mul_i32 s60, s3, 4                                       // 000000003048: 923C8403
	s_add_u32 s46, s60, s46                                    // 00000000304C: 802E2E3C
	s_addc_u32 s47, 0, s47                                     // 000000003050: 822F2F80
	s_load_dword s5, s[46:47], 0x0                             // 000000003054: C0020157 00000000
	s_mul_i32 s60, s3, 32                                      // 00000000305C: 923CA003
	s_mul_i32 s60, 4, s60                                      // 000000003060: 923C3C84
	v_and_b32_e32 v50, 15, v0                                  // 000000003064: 2664008F
	v_lshlrev_b32_e32 v50, 2, v50                              // 000000003068: 24646482
	v_add_u32_e32 v50, s60, v50                                // 00000000306C: 6864643C
	v_mov_b32_e32 v51, 0                                       // 000000003070: 7E660280
	global_load_dword v6, v50, s[44:45]                        // 000000003074: DC508000 062C0032
	v_add_u32_e32 v50, 64, v50                                 // 00000000307C: 686464C0
	global_load_dword v7, v50, s[44:45]                        // 000000003080: DC508000 072C0032
	s_mul_i32 s60, s3, 32                                      // 000000003088: 923CA003
	s_add_u32 s60, s7, s60                                     // 00000000308C: 803C3C07
	s_mul_i32 s60, 4, s60                                      // 000000003090: 923C3C84
	s_add_u32 s44, s60, s44                                    // 000000003094: 802C2C3C
	s_addc_u32 s45, 0, s45                                     // 000000003098: 822D2D80
	s_load_dword s82, s[44:45], 0x0                            // 00000000309C: C0021496 00000000
	s_load_dword s83, s[44:45], 0x10                           // 0000000030A4: C00214D6 00000010
	s_load_dword s84, s[44:45], 0x20                           // 0000000030AC: C0021516 00000020
	s_load_dword s85, s[44:45], 0x30                           // 0000000030B4: C0021556 00000030
	s_load_dword s86, s[44:45], 0x40                           // 0000000030BC: C0021596 00000040
	s_load_dword s87, s[44:45], 0x50                           // 0000000030C4: C00215D6 00000050
	s_load_dword s88, s[44:45], 0x60                           // 0000000030CC: C0021616 00000060
	s_load_dword s89, s[44:45], 0x70                           // 0000000030D4: C0021656 00000070
	s_waitcnt lgkmcnt(0)                                       // 0000000030DC: BF8CC07F
	v_lshlrev_b32_e32 v50, 2, v0                               // 0000000030E0: 24640082
	s_and_b32 s82, s82, 0xffffff                               // 0000000030E4: 8652FF52 00FFFFFF
	s_mul_i32 s60, s82, s68                                    // 0000000030EC: 923C4452
	v_add_u32_e64 v26, v50, s60                                // 0000000030F0: D134001A 00007932
	s_and_b32 s83, s83, 0xffffff                               // 0000000030F8: 8653FF53 00FFFFFF
	s_mul_i32 s60, s83, s68                                    // 000000003100: 923C4453
	v_add_u32_e64 v27, v50, s60                                // 000000003104: D134001B 00007932
	s_and_b32 s84, s84, 0xffffff                               // 00000000310C: 8654FF54 00FFFFFF
	s_mul_i32 s60, s84, s68                                    // 000000003114: 923C4454
	v_add_u32_e64 v28, v50, s60                                // 000000003118: D134001C 00007932
	s_and_b32 s85, s85, 0xffffff                               // 000000003120: 8655FF55 00FFFFFF
	s_mul_i32 s60, s85, s68                                    // 000000003128: 923C4455
	v_add_u32_e64 v29, v50, s60                                // 00000000312C: D134001D 00007932
	s_and_b32 s86, s86, 0xffffff                               // 000000003134: 8656FF56 00FFFFFF
	s_mul_i32 s60, s86, s68                                    // 00000000313C: 923C4456
	v_add_u32_e64 v30, v50, s60                                // 000000003140: D134001E 00007932
	s_and_b32 s87, s87, 0xffffff                               // 000000003148: 8657FF57 00FFFFFF
	s_mul_i32 s60, s87, s68                                    // 000000003150: 923C4457
	v_add_u32_e64 v31, v50, s60                                // 000000003154: D134001F 00007932
	s_and_b32 s88, s88, 0xffffff                               // 00000000315C: 8658FF58 00FFFFFF
	s_mul_i32 s60, s88, s68                                    // 000000003164: 923C4458
	v_add_u32_e64 v32, v50, s60                                // 000000003168: D1340020 00007932
	s_and_b32 s89, s89, 0xffffff                               // 000000003170: 8659FF59 00FFFFFF
	s_mul_i32 s60, s89, s68                                    // 000000003178: 923C4459
	v_add_u32_e64 v33, v50, s60                                // 00000000317C: D1340021 00007932
	v_lshlrev_b32_e32 v50, 2, v0                               // 000000003184: 24640082
	s_mul_i32 s60, s82, s71                                    // 000000003188: 923C4752
	v_add_u32_e64 v80, v50, s60                                // 00000000318C: D1340050 00007932
	v_mov_b32_e32 v81, 0                                       // 000000003194: 7EA20280
	s_mul_i32 s60, s83, s71                                    // 000000003198: 923C4753
	v_add_u32_e64 v82, v50, s60                                // 00000000319C: D1340052 00007932
	v_mov_b32_e32 v83, 0                                       // 0000000031A4: 7EA60280
	s_mul_i32 s60, s84, s71                                    // 0000000031A8: 923C4754
	v_add_u32_e64 v84, v50, s60                                // 0000000031AC: D1340054 00007932
	v_mov_b32_e32 v85, 0                                       // 0000000031B4: 7EAA0280
	s_mul_i32 s60, s85, s71                                    // 0000000031B8: 923C4755
	v_add_u32_e64 v86, v50, s60                                // 0000000031BC: D1340056 00007932
	v_mov_b32_e32 v87, 0                                       // 0000000031C4: 7EAE0280
	s_mul_i32 s60, s86, s71                                    // 0000000031C8: 923C4756
	v_add_u32_e64 v88, v50, s60                                // 0000000031CC: D1340058 00007932
	v_mov_b32_e32 v89, 0                                       // 0000000031D4: 7EB20280
	s_mul_i32 s60, s87, s71                                    // 0000000031D8: 923C4757
	v_add_u32_e64 v90, v50, s60                                // 0000000031DC: D134005A 00007932
	v_mov_b32_e32 v91, 0                                       // 0000000031E4: 7EB60280
	s_mul_i32 s60, s88, s71                                    // 0000000031E8: 923C4758
	v_add_u32_e64 v92, v50, s60                                // 0000000031EC: D134005C 00007932
	v_mov_b32_e32 v93, 0                                       // 0000000031F4: 7EBA0280
	s_mul_i32 s60, s89, s71                                    // 0000000031F8: 923C4759
	v_add_u32_e64 v94, v50, s60                                // 0000000031FC: D134005E 00007932
	v_mov_b32_e32 v95, 0                                       // 000000003204: 7EBE0280
	s_mul_i32 s60, s7, 0x820                                   // 000000003208: 923CFF07 00000820
	s_add_u32 s50, 0, s60                                      // 000000003210: 80323C80
	s_add_u32 s51, 0x2080, s50                                 // 000000003214: 803332FF 00002080
	v_lshrrev_b32_e32 v50, 4, v0                               // 00000000321C: 20640084
	v_lshlrev_b32_e32 v51, 2, v50                              // 000000003220: 24666482
	v_and_b32_e32 v50, 15, v0                                  // 000000003224: 2664008F
	v_lshrrev_b32_e32 v52, 2, v50                              // 000000003228: 20686482
	v_lshlrev_b32_e32 v52, 6, v52                              // 00000000322C: 24686886
	v_add_u32_e32 v51, v52, v51                                // 000000003230: 68666734
	v_and_b32_e32 v50, 3, v0                                   // 000000003234: 26640083
	v_mul_i32_i24_e32 v52, 0x208, v50                          // 000000003238: 0C6864FF 00000208
	v_add_u32_e32 v51, v52, v51                                // 000000003240: 68666734
	v_lshlrev_b32_e32 v2, 2, v51                               // 000000003244: 24046682
	s_mul_i32 s60, s2, 0x180                                   // 000000003248: 923CFF02 00000180
	s_mul_i32 s60, s60, s69                                    // 000000003250: 923C453C
	s_mul_i32 s61, s5, s72                                     // 000000003254: 923D4805
	s_add_u32 s60, s61, s60                                    // 000000003258: 803C3C3D
	s_add_u32 s24, s60, s24                                    // 00000000325C: 8018183C
	s_addc_u32 s25, 0, s25                                     // 000000003260: 82191980
	s_mul_i32 s60, s7, 16                                      // 000000003264: 923C9007
	s_mul_i32 s60, s60, s69                                    // 000000003268: 923C453C
	v_lshlrev_b32_e32 v34, 4, v0                               // 00000000326C: 24440084
	v_add_u32_e32 v34, s60, v34                                // 000000003270: 6844443C
	s_mul_i32 s60, 64, s69                                     // 000000003274: 923C45C0
	v_add_u32_e32 v35, s60, v34                                // 000000003278: 6846443C
	v_add_u32_e32 v36, s60, v35                                // 00000000327C: 6848463C
	v_add_u32_e32 v37, s60, v36                                // 000000003280: 684A483C
	v_add_u32_e32 v38, s60, v37                                // 000000003284: 684C4A3C
	v_add_u32_e32 v39, s60, v38                                // 000000003288: 684E4C3C
	s_mov_b32 s92, s24                                         // 00000000328C: BEDC0018
	s_mov_b32 s93, s25                                         // 000000003290: BEDD0019
	s_mov_b32 s94, s26                                         // 000000003294: BEDE001A
	s_mov_b32 s95, s27                                         // 000000003298: BEDF001B
	s_mul_i32 s60, s69, s65                                    // 00000000329C: 923C4145
	s_add_u32 s92, s60, s92                                    // 0000000032A0: 805C5C3C
	s_addc_u32 s93, 0, s93                                     // 0000000032A4: 825D5D80
	s_mul_i32 s60, s2, 0x1800                                  // 0000000032A8: 923CFF02 00001800
	s_mul_i32 s61, s5, s73                                     // 0000000032B0: 923D4905
	s_add_u32 s60, s61, s60                                    // 0000000032B4: 803C3C3D
	s_add_u32 s12, s60, s12                                    // 0000000032B8: 800C0C3C
	s_addc_u32 s13, 0, s13                                     // 0000000032BC: 820D0D80
	s_mul_i32 s60, s7, 16                                      // 0000000032C0: 923C9007
	s_mul_i32 s60, s60, s70                                    // 0000000032C4: 923C463C
	v_lshlrev_b32_e32 v40, 4, v0                               // 0000000032C8: 24500084
	v_add_u32_e32 v40, s60, v40                                // 0000000032CC: 6850503C
	s_mul_i32 s60, 64, s70                                     // 0000000032D0: 923C46C0
	v_add_u32_e32 v41, s60, v40                                // 0000000032D4: 6852503C
	v_add_u32_e32 v42, s60, v41                                // 0000000032D8: 6854523C
	v_add_u32_e32 v43, s60, v42                                // 0000000032DC: 6856543C
	s_mul_i32 s60, s70, 0x100                                  // 0000000032E0: 923CFF46 00000100
	s_mov_b32 s78, 0x400                                       // 0000000032E8: BECE00FF 00000400
	s_mul_i32 s61, s78, 5                                      // 0000000032F0: 923D854E
	s_sub_u32 s56, s60, s61                                    // 0000000032F4: 80B83D3C
	s_mul_i32 s60, s3, 32                                      // 0000000032F8: 923CA003
	s_mul_i32 s60, 4, s60                                      // 0000000032FC: 923C3C84
	s_add_u32 s40, s60, s40                                    // 000000003300: 8028283C
	s_addc_u32 s41, 0, s41                                     // 000000003304: 82292980
	v_and_b32_e32 v50, 15, v0                                  // 000000003308: 2664008F
	v_lshlrev_b32_e32 v8, 2, v50                               // 00000000330C: 24106482
	v_add_u32_e32 v9, 64, v8                                   // 000000003310: 681210C0
	v_lshrrev_b32_e32 v50, 4, v0                               // 000000003314: 20640084
	v_lshlrev_b32_e32 v51, 2, v50                              // 000000003318: 24666482
	v_and_b32_e32 v50, 15, v0                                  // 00000000331C: 2664008F
	v_lshrrev_b32_e32 v52, 2, v50                              // 000000003320: 20686482
	v_lshlrev_b32_e32 v52, 6, v52                              // 000000003324: 24686886
	v_add_u32_e32 v51, v52, v51                                // 000000003328: 68666734
	v_and_b32_e32 v50, 3, v0                                   // 00000000332C: 26640083
	v_add_u32_e32 v51, v50, v51                                // 000000003330: 68666732
	v_lshlrev_b32_e32 v10, 2, v51                              // 000000003334: 24146682
	v_add_u32_e32 v11, 0x400, v10                              // 000000003338: 681614FF 00000400
	s_mul_i32 s60, s7, 16                                      // 000000003340: 923C9007
	s_mul_i32 s60, s60, 4                                      // 000000003344: 923C843C
	v_add_u32_e32 v10, s60, v10                                // 000000003348: 6814143C
	v_add_u32_e32 v11, s60, v11                                // 00000000334C: 6816163C
	v_mov_b32_e32 v5, v10                                      // 000000003350: 7E0A030A
	s_mul_i32 s60, s2, 0x180                                   // 000000003354: 923CFF02 00000180
	s_mul_i32 s60, s60, 4                                      // 00000000335C: 923C843C
	s_mul_i32 s61, s5, s74                                     // 000000003360: 923D4A05
	s_add_u32 s61, s61, s60                                    // 000000003364: 803D3C3D
	s_mul_i32 s62, s5, s76                                     // 000000003368: 923E4C05
	s_add_u32 s62, s62, s60                                    // 00000000336C: 803E3C3E
	s_add_u32 s32, s61, s32                                    // 000000003370: 8020203D
	s_addc_u32 s33, 0, s33                                     // 000000003374: 82212180
	s_add_u32 s36, s62, s36                                    // 000000003378: 8024243E
	s_addc_u32 s37, 0, s37                                     // 00000000337C: 82252580
	s_mul_i32 s60, s5, s75                                     // 000000003380: 923C4B05
	s_add_u32 s16, s60, s16                                    // 000000003384: 8010103C
	s_addc_u32 s17, 0, s17                                     // 000000003388: 82111180
	s_mov_b32 s57, 0x100                                       // 00000000338C: BEB900FF 00000100
	s_mov_b32 s58, 0x1000                                      // 000000003394: BEBA00FF 00001000
	s_mov_b32 s79, 0x400                                       // 00000000339C: BECF00FF 00000400
	s_mov_b32 s59, 0                                           // 0000000033A4: BEBB0080
	s_mov_b32 s90, s58                                         // 0000000033A8: BEDA003A
	s_mov_b32 s52, 0x7060302                                   // 0000000033AC: BEB400FF 07060302
	s_mov_b32 s53, 0x400                                       // 0000000033B4: BEB500FF 00000400
	s_mov_b32 s54, 0x40100                                     // 0000000033BC: BEB600FF 00040100
	s_mov_b32 s55, 0x4020100                                   // 0000000033C4: BEB700FF 04020100
	s_mov_b32 s6, 0x3fb8aa3b                                   // 0000000033CC: BE8600FF 3FB8AA3B
	s_mov_b32 s77, 0xbd92220c                                  // 0000000033D4: BECD00FF BD92220C
	s_mov_b32 m0, s50                                          // 0000000033DC: BEFC0032
	v_mov_b32_e32 v1, 0xbfcc4231                               // 0000000033E0: 7E0202FF BFCC4231
	v_mov_b32_e32 v45, 0xffff0000                              // 0000000033E8: 7E5A02FF FFFF0000
	v_mov_b32_e32 v46, 0x7fff0000                              // 0000000033F0: 7E5C02FF 7FFF0000
	v_mov_b32_e32 v47, 0x7fff                                  // 0000000033F8: 7E5E02FF 00007FFF
	s_waitcnt vmcnt(0) expcnt(0) lgkmcnt(0)                    // 000000003400: BF8C0000
	v_and_b32_e32 v6, 0xffffff, v6                             // 000000003404: 260C0CFF 00FFFFFF
	v_and_b32_e32 v7, 0xffffff, v7                             // 00000000340C: 260E0EFF 00FFFFFF
	v_lshlrev_b32_e32 v6, 2, v6                                // 000000003414: 240C0C82
	v_lshlrev_b32_e32 v7, 2, v7                                // 000000003418: 240E0E82
	buffer_load_dword v14, v6, s[28:31], 0 offen               // 00000000341C: E0501000 80070E06
	buffer_load_dword v15, v7, s[28:31], 0 offen               // 000000003424: E0501000 80070F07
	buffer_load_dword v16, v10, s[32:35], 0 offen              // 00000000342C: E0501000 8008100A
	buffer_load_dword v17, v11, s[32:35], 0 offen              // 000000003434: E0501000 8008110B
	s_mul_i32 s60, 4, s65                                      // 00000000343C: 923C4184
	s_add_u32 s32, s60, s32                                    // 000000003440: 8020203C
	s_addc_u32 s33, 0, s33                                     // 000000003444: 82212180
	buffer_load_dword v48, v10, s[32:35], 0 offen              // 000000003448: E0501000 8008300A
	buffer_load_dword v49, v11, s[32:35], 0 offen              // 000000003450: E0501000 8008310B
	buffer_load_dword v20, v8, s[40:43], 0 offen               // 000000003458: E0501000 800A1408
	buffer_load_dword v21, v9, s[40:43], 0 offen               // 000000003460: E0501000 800A1509
	buffer_load_dword v26, s[20:23], 0 offen lds               // 000000003468: E0511000 8005001A
	s_add_u32 m0, 0x100, s50                                   // 000000003470: 807C32FF 00000100
	buffer_load_dword v27, s[20:23], 0 offen lds               // 000000003478: E0511000 8005001B
	s_add_u32 m0, 0x200, s50                                   // 000000003480: 807C32FF 00000200
	buffer_load_dword v28, s[20:23], 0 offen lds               // 000000003488: E0511000 8005001C
	s_add_u32 m0, 0x300, s50                                   // 000000003490: 807C32FF 00000300
	buffer_load_dword v29, s[20:23], 0 offen lds               // 000000003498: E0511000 8005001D
	s_add_u32 m0, 0x400, s50                                   // 0000000034A0: 807C32FF 00000400
	buffer_load_dword v30, s[20:23], 0 offen lds               // 0000000034A8: E0511000 8005001E
	s_add_u32 m0, 0x500, s50                                   // 0000000034B0: 807C32FF 00000500
	buffer_load_dword v31, s[20:23], 0 offen lds               // 0000000034B8: E0511000 8005001F
	s_add_u32 m0, 0x600, s50                                   // 0000000034C0: 807C32FF 00000600
	buffer_load_dword v32, s[20:23], 0 offen lds               // 0000000034C8: E0511000 80050020
	s_add_u32 m0, 0x700, s50                                   // 0000000034D0: 807C32FF 00000700
	buffer_load_dword v33, s[20:23], 0 offen lds               // 0000000034D8: E0511000 80050021
	s_add_u32 m0, 0, s51                                       // 0000000034E0: 807C3380
	s_add_u32 s20, s57, s20                                    // 0000000034E4: 80141439
	s_addc_u32 s21, 0, s21                                     // 0000000034E8: 82151580
	buffer_load_dwordx4 a[0:3], v34, s[24:27], 0 offen         // 0000000034EC: E05C1000 80860022
	buffer_load_dwordx4 a[4:7], v34, s[24:27], 0 offen offset:1024// 0000000034F4: E05C1400 80860422
	buffer_load_dwordx4 a[8:11], v34, s[24:27], 0 offen offset:2048// 0000000034FC: E05C1800 80860822
	buffer_load_dwordx4 a[12:15], v34, s[24:27], 0 offen offset:3072// 000000003504: E05C1C00 80860C22
	buffer_load_dwordx4 a[16:19], v35, s[24:27], 0 offen       // 00000000350C: E05C1000 80861023
	buffer_load_dwordx4 a[20:23], v35, s[24:27], 0 offen offset:1024// 000000003514: E05C1400 80861423
	buffer_load_dwordx4 a[24:27], v35, s[24:27], 0 offen offset:2048// 00000000351C: E05C1800 80861823
	buffer_load_dwordx4 a[28:31], v35, s[24:27], 0 offen offset:3072// 000000003524: E05C1C00 80861C23
	buffer_load_dwordx4 a[32:35], v36, s[24:27], 0 offen       // 00000000352C: E05C1000 80862024
	buffer_load_dwordx4 a[36:39], v36, s[24:27], 0 offen offset:1024// 000000003534: E05C1400 80862424
	buffer_load_dwordx4 a[40:43], v36, s[24:27], 0 offen offset:2048// 00000000353C: E05C1800 80862824
	buffer_load_dwordx4 a[44:47], v36, s[24:27], 0 offen offset:3072// 000000003544: E05C1C00 80862C24
	buffer_load_dwordx4 a[48:51], v37, s[24:27], 0 offen       // 00000000354C: E05C1000 80863025
	buffer_load_dwordx4 a[52:55], v37, s[24:27], 0 offen offset:1024// 000000003554: E05C1400 80863425
	buffer_load_dwordx4 a[56:59], v37, s[24:27], 0 offen offset:2048// 00000000355C: E05C1800 80863825
	buffer_load_dwordx4 a[60:63], v37, s[24:27], 0 offen offset:3072// 000000003564: E05C1C00 80863C25
	buffer_load_dwordx4 a[64:67], v38, s[24:27], 0 offen       // 00000000356C: E05C1000 80864026
	buffer_load_dwordx4 a[68:71], v38, s[24:27], 0 offen offset:1024// 000000003574: E05C1400 80864426
	buffer_load_dwordx4 a[72:75], v38, s[24:27], 0 offen offset:2048// 00000000357C: E05C1800 80864826
	buffer_load_dwordx4 a[76:79], v38, s[24:27], 0 offen offset:3072// 000000003584: E05C1C00 80864C26
	buffer_load_dwordx4 a[80:83], v39, s[24:27], 0 offen       // 00000000358C: E05C1000 80865027
	buffer_load_dwordx4 a[84:87], v39, s[24:27], 0 offen offset:1024// 000000003594: E05C1400 80865427
	buffer_load_dwordx4 a[88:91], v39, s[24:27], 0 offen offset:2048// 00000000359C: E05C1800 80865827
	buffer_load_dwordx4 a[92:95], v39, s[24:27], 0 offen offset:3072// 0000000035A4: E05C1C00 80865C27
	s_add_u32 s24, s58, s24                                    // 0000000035AC: 8018183A
	s_addc_u32 s25, 0, s25                                     // 0000000035B0: 82191980
	v_mov_b32_e32 v128, 0                                      // 0000000035B4: 7F000280
	v_mov_b32_e32 v64, 0                                       // 0000000035B8: 7E800280
	v_mov_b32_e32 v129, 0                                      // 0000000035BC: 7F020280
	v_mov_b32_e32 v65, 0                                       // 0000000035C0: 7E820280
	v_mov_b32_e32 v130, 0                                      // 0000000035C4: 7F040280
	v_mov_b32_e32 v66, 0                                       // 0000000035C8: 7E840280
	v_mov_b32_e32 v131, 0                                      // 0000000035CC: 7F060280
	v_mov_b32_e32 v67, 0                                       // 0000000035D0: 7E860280
	v_mov_b32_e32 v132, 0                                      // 0000000035D4: 7F080280
	v_mov_b32_e32 v68, 0                                       // 0000000035D8: 7E880280
	v_mov_b32_e32 v133, 0                                      // 0000000035DC: 7F0A0280
	v_mov_b32_e32 v69, 0                                       // 0000000035E0: 7E8A0280
	v_mov_b32_e32 v134, 0                                      // 0000000035E4: 7F0C0280
	v_mov_b32_e32 v70, 0                                       // 0000000035E8: 7E8C0280
	v_mov_b32_e32 v135, 0                                      // 0000000035EC: 7F0E0280
	v_mov_b32_e32 v71, 0                                       // 0000000035F0: 7E8E0280
	v_mov_b32_e32 v136, 0                                      // 0000000035F4: 7F100280
	v_mov_b32_e32 v72, 0                                       // 0000000035F8: 7E900280
	v_mov_b32_e32 v137, 0                                      // 0000000035FC: 7F120280
	v_mov_b32_e32 v73, 0                                       // 000000003600: 7E920280
	v_mov_b32_e32 v138, 0                                      // 000000003604: 7F140280
	v_mov_b32_e32 v74, 0                                       // 000000003608: 7E940280
	v_mov_b32_e32 v139, 0                                      // 00000000360C: 7F160280
	v_mov_b32_e32 v75, 0                                       // 000000003610: 7E960280
	v_mov_b32_e32 v140, 0                                      // 000000003614: 7F180280
	v_mov_b32_e32 v76, 0                                       // 000000003618: 7E980280
	v_mov_b32_e32 v141, 0                                      // 00000000361C: 7F1A0280
	v_mov_b32_e32 v77, 0                                       // 000000003620: 7E9A0280
	v_mov_b32_e32 v142, 0                                      // 000000003624: 7F1C0280
	v_mov_b32_e32 v78, 0                                       // 000000003628: 7E9C0280
	v_mov_b32_e32 v143, 0                                      // 00000000362C: 7F1E0280
	v_mov_b32_e32 v79, 0                                       // 000000003630: 7E9E0280
	v_mov_b32_e32 v144, 0                                      // 000000003634: 7F200280
	v_mov_b32_e32 v80, 0                                       // 000000003638: 7EA00280
	v_mov_b32_e32 v145, 0                                      // 00000000363C: 7F220280
	v_mov_b32_e32 v81, 0                                       // 000000003640: 7EA20280
	v_mov_b32_e32 v146, 0                                      // 000000003644: 7F240280
	v_mov_b32_e32 v82, 0                                       // 000000003648: 7EA40280
	v_mov_b32_e32 v147, 0                                      // 00000000364C: 7F260280
	v_mov_b32_e32 v83, 0                                       // 000000003650: 7EA60280
	v_mov_b32_e32 v148, 0                                      // 000000003654: 7F280280
	v_mov_b32_e32 v84, 0                                       // 000000003658: 7EA80280
	v_mov_b32_e32 v149, 0                                      // 00000000365C: 7F2A0280
	v_mov_b32_e32 v85, 0                                       // 000000003660: 7EAA0280
	v_mov_b32_e32 v150, 0                                      // 000000003664: 7F2C0280
	v_mov_b32_e32 v86, 0                                       // 000000003668: 7EAC0280
	v_mov_b32_e32 v151, 0                                      // 00000000366C: 7F2E0280
	v_mov_b32_e32 v87, 0                                       // 000000003670: 7EAE0280
	v_mov_b32_e32 v152, 0                                      // 000000003674: 7F300280
	v_mov_b32_e32 v88, 0                                       // 000000003678: 7EB00280
	v_mov_b32_e32 v153, 0                                      // 00000000367C: 7F320280
	v_mov_b32_e32 v89, 0                                       // 000000003680: 7EB20280
	v_mov_b32_e32 v154, 0                                      // 000000003684: 7F340280
	v_mov_b32_e32 v90, 0                                       // 000000003688: 7EB40280
	v_mov_b32_e32 v155, 0                                      // 00000000368C: 7F360280
	v_mov_b32_e32 v91, 0                                       // 000000003690: 7EB60280
	v_mov_b32_e32 v156, 0                                      // 000000003694: 7F380280
	v_mov_b32_e32 v92, 0                                       // 000000003698: 7EB80280
	v_mov_b32_e32 v157, 0                                      // 00000000369C: 7F3A0280
	v_mov_b32_e32 v93, 0                                       // 0000000036A0: 7EBA0280
	v_mov_b32_e32 v158, 0                                      // 0000000036A4: 7F3C0280
	v_mov_b32_e32 v94, 0                                       // 0000000036A8: 7EBC0280
	v_mov_b32_e32 v159, 0                                      // 0000000036AC: 7F3E0280
	v_mov_b32_e32 v95, 0                                       // 0000000036B0: 7EBE0280
	v_mov_b32_e32 v160, 0                                      // 0000000036B4: 7F400280
	v_mov_b32_e32 v96, 0                                       // 0000000036B8: 7EC00280
	v_mov_b32_e32 v161, 0                                      // 0000000036BC: 7F420280
	v_mov_b32_e32 v97, 0                                       // 0000000036C0: 7EC20280
	v_mov_b32_e32 v162, 0                                      // 0000000036C4: 7F440280
	v_mov_b32_e32 v98, 0                                       // 0000000036C8: 7EC40280
	v_mov_b32_e32 v163, 0                                      // 0000000036CC: 7F460280
	v_mov_b32_e32 v99, 0                                       // 0000000036D0: 7EC60280
	v_mov_b32_e32 v164, 0                                      // 0000000036D4: 7F480280
	v_mov_b32_e32 v100, 0                                      // 0000000036D8: 7EC80280
	v_mov_b32_e32 v165, 0                                      // 0000000036DC: 7F4A0280
	v_mov_b32_e32 v101, 0                                      // 0000000036E0: 7ECA0280
	v_mov_b32_e32 v166, 0                                      // 0000000036E4: 7F4C0280
	v_mov_b32_e32 v102, 0                                      // 0000000036E8: 7ECC0280
	v_mov_b32_e32 v167, 0                                      // 0000000036EC: 7F4E0280
	v_mov_b32_e32 v103, 0                                      // 0000000036F0: 7ECE0280
	v_mov_b32_e32 v168, 0                                      // 0000000036F4: 7F500280
	v_mov_b32_e32 v104, 0                                      // 0000000036F8: 7ED00280
	v_mov_b32_e32 v169, 0                                      // 0000000036FC: 7F520280
	v_mov_b32_e32 v105, 0                                      // 000000003700: 7ED20280
	v_mov_b32_e32 v170, 0                                      // 000000003704: 7F540280
	v_mov_b32_e32 v106, 0                                      // 000000003708: 7ED40280
	v_mov_b32_e32 v171, 0                                      // 00000000370C: 7F560280
	v_mov_b32_e32 v107, 0                                      // 000000003710: 7ED60280
	v_mov_b32_e32 v172, 0                                      // 000000003714: 7F580280
	v_mov_b32_e32 v108, 0                                      // 000000003718: 7ED80280
	v_mov_b32_e32 v173, 0                                      // 00000000371C: 7F5A0280
	v_mov_b32_e32 v109, 0                                      // 000000003720: 7EDA0280
	v_mov_b32_e32 v174, 0                                      // 000000003724: 7F5C0280
	v_mov_b32_e32 v110, 0                                      // 000000003728: 7EDC0280
	v_mov_b32_e32 v175, 0                                      // 00000000372C: 7F5E0280
	v_mov_b32_e32 v111, 0                                      // 000000003730: 7EDE0280
	v_lshrrev_b32_e32 v50, 4, v0                               // 000000003734: 20640084
	v_mul_i32_i24_e32 v3, 34, v50                              // 000000003738: 0C0664A2
	v_and_b32_e32 v50, 15, v0                                  // 00000000373C: 2664008F
	v_mul_i32_i24_e32 v51, 2, v50                              // 000000003740: 0C666482
	v_add_u32_e32 v3, v51, v3                                  // 000000003744: 68060733
	s_mul_i32 s60, s7, 0x88                                    // 000000003748: 923CFF07 00000088
	v_add_u32_e32 v3, s60, v3                                  // 000000003750: 6806063C
	v_lshlrev_b32_e32 v3, 2, v3                                // 000000003754: 24060682
	v_lshrrev_b32_e32 v50, 1, v0                               // 000000003758: 20640081
	v_mul_i32_i24_e32 v4, 34, v50                              // 00000000375C: 0C0864A2
	v_and_b32_e32 v51, 1, v0                                   // 000000003760: 26660081
	v_add_u32_e32 v4, v51, v4                                  // 000000003764: 68080933
	s_mul_i32 s60, s7, 2                                       // 000000003768: 923C8207
	v_add_u32_e32 v4, s60, v4                                  // 00000000376C: 6808083C
	v_lshlrev_b32_e32 v4, 2, v4                                // 000000003770: 24080882
	s_waitcnt vmcnt(24)                                        // 000000003774: BF8C4F78
	s_barrier                                                  // 000000003778: BF8A0000
	ds_read_b128 v[176:179], v2                                // 00000000377C: D9FE0000 B0000002
	ds_read_b128 v[180:183], v2 offset:64                      // 000000003784: D9FE0040 B4000002
	ds_read_b128 v[184:187], v2 offset:128                     // 00000000378C: D9FE0080 B8000002
	ds_read_b128 v[188:191], v2 offset:192                     // 000000003794: D9FE00C0 BC000002
	ds_read_b128 v[192:195], v2 offset:1024                    // 00000000379C: D9FE0400 C0000002
	ds_read_b128 v[196:199], v2 offset:1088                    // 0000000037A4: D9FE0440 C4000002
	ds_read_b128 v[200:203], v2 offset:1152                    // 0000000037AC: D9FE0480 C8000002
	ds_read_b128 v[204:207], v2 offset:1216                    // 0000000037B4: D9FE04C0 CC000002
	s_cmp_lt_i32 s7, 2                                         // 0000000037BC: BF048207
	s_cbranch_scc0 label_0FB2                                  // 0000000037C0: BF840D41

00000000000037c4 <label_0271>:
	s_waitcnt vmcnt(16) lgkmcnt(0)                             // 0000000037C4: BF8C4070
	s_barrier                                                  // 0000000037C8: BF8A0000
	v_mfma_f32_16x16x32_fp8_fp8 v[128:131], a[0:1], v[176:177], v[128:131]// 0000000037CC: D3F30080 0E036100
	v_mfma_f32_16x16x32_fp8_fp8 v[128:131], a[2:3], v[178:179], v[128:131]// 0000000037D4: D3F30080 0E036502
	buffer_load_dwordx4 a[96:99], v34, s[92:95], 0 offen       // 0000000037DC: E05C1000 80976022
	v_mfma_f32_16x16x32_fp8_fp8 v[128:131], a[4:5], v[180:181], v[128:131]// 0000000037E4: D3F30080 0E036904
	v_mfma_f32_16x16x32_fp8_fp8 v[128:131], a[6:7], v[182:183], v[128:131]// 0000000037EC: D3F30080 0E036D06
	buffer_load_dword v26, s[20:23], 0 offen lds               // 0000000037F4: E0511000 8005001A
	s_add_u32 m0, 0x100, s51                                   // 0000000037FC: 807C33FF 00000100
	v_mfma_f32_16x16x32_fp8_fp8 v[128:131], a[8:9], v[184:185], v[128:131]// 000000003804: D3F30080 0E037108
	v_mfma_f32_16x16x32_fp8_fp8 v[128:131], a[10:11], v[186:187], v[128:131]// 00000000380C: D3F30080 0E03750A
	buffer_load_dwordx4 a[100:103], v34, s[92:95], 0 offen offset:1024// 000000003814: E05C1400 80976422
	v_mfma_f32_16x16x32_fp8_fp8 v[128:131], a[12:13], v[188:189], v[128:131]// 00000000381C: D3F30080 0E03790C
	v_mfma_f32_16x16x32_fp8_fp8 v[128:131], a[14:15], v[190:191], v[128:131]// 000000003824: D3F30080 0E037D0E
	buffer_load_dword v27, s[20:23], 0 offen lds               // 00000000382C: E0511000 8005001B
	s_add_u32 m0, 0x200, s51                                   // 000000003834: 807C33FF 00000200
	v_mfma_f32_16x16x32_fp8_fp8 v[132:135], a[0:1], v[192:193], v[132:135]// 00000000383C: D3F30084 0E138100
	v_mfma_f32_16x16x32_fp8_fp8 v[132:135], a[2:3], v[194:195], v[132:135]// 000000003844: D3F30084 0E138502
	buffer_load_dwordx4 a[104:107], v34, s[92:95], 0 offen offset:2048// 00000000384C: E05C1800 80976822
	v_mfma_f32_16x16x32_fp8_fp8 v[132:135], a[4:5], v[196:197], v[132:135]// 000000003854: D3F30084 0E138904
	v_mfma_f32_16x16x32_fp8_fp8 v[132:135], a[6:7], v[198:199], v[132:135]// 00000000385C: D3F30084 0E138D06
	buffer_load_dword v28, s[20:23], 0 offen lds               // 000000003864: E0511000 8005001C
	s_add_u32 m0, 0x300, s51                                   // 00000000386C: 807C33FF 00000300
	v_mfma_f32_16x16x32_fp8_fp8 v[132:135], a[8:9], v[200:201], v[132:135]// 000000003874: D3F30084 0E139108
	v_mfma_f32_16x16x32_fp8_fp8 v[132:135], a[10:11], v[202:203], v[132:135]// 00000000387C: D3F30084 0E13950A
	buffer_load_dwordx4 a[108:111], v34, s[92:95], 0 offen offset:3072// 000000003884: E05C1C00 80976C22
	v_mfma_f32_16x16x32_fp8_fp8 v[132:135], a[12:13], v[204:205], v[132:135]// 00000000388C: D3F30084 0E13990C
	v_mfma_f32_16x16x32_fp8_fp8 v[132:135], a[14:15], v[206:207], v[132:135]// 000000003894: D3F30084 0E139D0E
	buffer_load_dword v29, s[20:23], 0 offen lds               // 00000000389C: E0511000 8005001D
	s_add_u32 m0, 0x400, s51                                   // 0000000038A4: 807C33FF 00000400
	v_mfma_f32_16x16x32_fp8_fp8 v[136:139], a[16:17], v[176:177], v[136:139]// 0000000038AC: D3F30088 0E236110
	v_mfma_f32_16x16x32_fp8_fp8 v[136:139], a[18:19], v[178:179], v[136:139]// 0000000038B4: D3F30088 0E236512
	buffer_load_dwordx4 a[112:115], v35, s[92:95], 0 offen     // 0000000038BC: E05C1000 80977023
	v_mfma_f32_16x16x32_fp8_fp8 v[136:139], a[20:21], v[180:181], v[136:139]// 0000000038C4: D3F30088 0E236914
	v_mfma_f32_16x16x32_fp8_fp8 v[136:139], a[22:23], v[182:183], v[136:139]// 0000000038CC: D3F30088 0E236D16
	buffer_load_dword v30, s[20:23], 0 offen lds               // 0000000038D4: E0511000 8005001E
	s_add_u32 m0, 0x500, s51                                   // 0000000038DC: 807C33FF 00000500
	v_mfma_f32_16x16x32_fp8_fp8 v[136:139], a[24:25], v[184:185], v[136:139]// 0000000038E4: D3F30088 0E237118
	v_mfma_f32_16x16x32_fp8_fp8 v[136:139], a[26:27], v[186:187], v[136:139]// 0000000038EC: D3F30088 0E23751A
	buffer_load_dwordx4 a[116:119], v35, s[92:95], 0 offen offset:1024// 0000000038F4: E05C1400 80977423
	v_mfma_f32_16x16x32_fp8_fp8 v[136:139], a[28:29], v[188:189], v[136:139]// 0000000038FC: D3F30088 0E23791C
	v_mfma_f32_16x16x32_fp8_fp8 v[136:139], a[30:31], v[190:191], v[136:139]// 000000003904: D3F30088 0E237D1E
	buffer_load_dword v31, s[20:23], 0 offen lds               // 00000000390C: E0511000 8005001F
	s_add_u32 m0, 0x600, s51                                   // 000000003914: 807C33FF 00000600
	v_mfma_f32_16x16x32_fp8_fp8 v[140:143], a[16:17], v[192:193], v[140:143]// 00000000391C: D3F3008C 0E338110
	v_mfma_f32_16x16x32_fp8_fp8 v[140:143], a[18:19], v[194:195], v[140:143]// 000000003924: D3F3008C 0E338512
	buffer_load_dwordx4 a[120:123], v35, s[92:95], 0 offen offset:2048// 00000000392C: E05C1800 80977823
	v_mfma_f32_16x16x32_fp8_fp8 v[140:143], a[20:21], v[196:197], v[140:143]// 000000003934: D3F3008C 0E338914
	v_mfma_f32_16x16x32_fp8_fp8 v[140:143], a[22:23], v[198:199], v[140:143]// 00000000393C: D3F3008C 0E338D16
	buffer_load_dword v32, s[20:23], 0 offen lds               // 000000003944: E0511000 80050020
	s_add_u32 m0, 0x700, s51                                   // 00000000394C: 807C33FF 00000700
	v_mfma_f32_16x16x32_fp8_fp8 v[140:143], a[24:25], v[200:201], v[140:143]// 000000003954: D3F3008C 0E339118
	v_mfma_f32_16x16x32_fp8_fp8 v[140:143], a[26:27], v[202:203], v[140:143]// 00000000395C: D3F3008C 0E33951A
	buffer_load_dwordx4 a[124:127], v35, s[92:95], 0 offen offset:3072// 000000003964: E05C1C00 80977C23
	v_mfma_f32_16x16x32_fp8_fp8 v[140:143], a[28:29], v[204:205], v[140:143]// 00000000396C: D3F3008C 0E33991C
	v_mfma_f32_16x16x32_fp8_fp8 v[140:143], a[30:31], v[206:207], v[140:143]// 000000003974: D3F3008C 0E339D1E
	buffer_load_dword v33, s[20:23], 0 offen lds               // 00000000397C: E0511000 80050021
	s_add_u32 m0, 0, s50                                       // 000000003984: 807C3280
	s_waitcnt vmcnt(28)                                        // 000000003988: BF8C4F7C
	v_mfma_f32_16x16x32_fp8_fp8 v[144:147], a[32:33], v[176:177], v[144:147]// 00000000398C: D3F30090 0E436120
	v_mfma_f32_16x16x32_fp8_fp8 v[144:147], a[34:35], v[178:179], v[144:147]// 000000003994: D3F30090 0E436522
	buffer_load_dwordx4 a[128:131], v36, s[92:95], 0 offen     // 00000000399C: E05C1000 80978024
	v_mfma_f32_16x16x32_fp8_fp8 v[144:147], a[36:37], v[180:181], v[144:147]// 0000000039A4: D3F30090 0E436924
	v_mfma_f32_16x16x32_fp8_fp8 v[144:147], a[38:39], v[182:183], v[144:147]// 0000000039AC: D3F30090 0E436D26
	v_mfma_f32_16x16x32_fp8_fp8 v[144:147], a[40:41], v[184:185], v[144:147]// 0000000039B4: D3F30090 0E437128
	v_mfma_f32_16x16x32_fp8_fp8 v[144:147], a[42:43], v[186:187], v[144:147]// 0000000039BC: D3F30090 0E43752A
	buffer_load_dwordx4 a[132:135], v36, s[92:95], 0 offen offset:1024// 0000000039C4: E05C1400 80978424
	v_mfma_f32_16x16x32_fp8_fp8 v[144:147], a[44:45], v[188:189], v[144:147]// 0000000039CC: D3F30090 0E43792C
	v_mfma_f32_16x16x32_fp8_fp8 v[144:147], a[46:47], v[190:191], v[144:147]// 0000000039D4: D3F30090 0E437D2E
	v_mfma_f32_16x16x32_fp8_fp8 v[148:151], a[32:33], v[192:193], v[148:151]// 0000000039DC: D3F30094 0E538120
	v_mfma_f32_16x16x32_fp8_fp8 v[148:151], a[34:35], v[194:195], v[148:151]// 0000000039E4: D3F30094 0E538522
	buffer_load_dwordx4 a[136:139], v36, s[92:95], 0 offen offset:2048// 0000000039EC: E05C1800 80978824
	v_mfma_f32_16x16x32_fp8_fp8 v[148:151], a[36:37], v[196:197], v[148:151]// 0000000039F4: D3F30094 0E538924
	v_mfma_f32_16x16x32_fp8_fp8 v[148:151], a[38:39], v[198:199], v[148:151]// 0000000039FC: D3F30094 0E538D26
	v_mfma_f32_16x16x32_fp8_fp8 v[148:151], a[40:41], v[200:201], v[148:151]// 000000003A04: D3F30094 0E539128
	v_mfma_f32_16x16x32_fp8_fp8 v[148:151], a[42:43], v[202:203], v[148:151]// 000000003A0C: D3F30094 0E53952A
	buffer_load_dwordx4 a[140:143], v36, s[92:95], 0 offen offset:3072// 000000003A14: E05C1C00 80978C24
	v_mfma_f32_16x16x32_fp8_fp8 v[148:151], a[44:45], v[204:205], v[148:151]// 000000003A1C: D3F30094 0E53992C
	v_mfma_f32_16x16x32_fp8_fp8 v[148:151], a[46:47], v[206:207], v[148:151]// 000000003A24: D3F30094 0E539D2E
	s_waitcnt vmcnt(28)                                        // 000000003A2C: BF8C4F7C
	v_mfma_f32_16x16x32_fp8_fp8 v[152:155], a[48:49], v[176:177], v[152:155]// 000000003A30: D3F30098 0E636130
	v_mfma_f32_16x16x32_fp8_fp8 v[152:155], a[50:51], v[178:179], v[152:155]// 000000003A38: D3F30098 0E636532
	buffer_load_dwordx4 a[144:147], v37, s[92:95], 0 offen     // 000000003A40: E05C1000 80979025
	v_mfma_f32_16x16x32_fp8_fp8 v[152:155], a[52:53], v[180:181], v[152:155]// 000000003A48: D3F30098 0E636934
	v_mfma_f32_16x16x32_fp8_fp8 v[152:155], a[54:55], v[182:183], v[152:155]// 000000003A50: D3F30098 0E636D36
	v_mfma_f32_16x16x32_fp8_fp8 v[152:155], a[56:57], v[184:185], v[152:155]// 000000003A58: D3F30098 0E637138
	v_mfma_f32_16x16x32_fp8_fp8 v[152:155], a[58:59], v[186:187], v[152:155]// 000000003A60: D3F30098 0E63753A
	buffer_load_dwordx4 a[148:151], v37, s[92:95], 0 offen offset:1024// 000000003A68: E05C1400 80979425
	v_mfma_f32_16x16x32_fp8_fp8 v[152:155], a[60:61], v[188:189], v[152:155]// 000000003A70: D3F30098 0E63793C
	v_mfma_f32_16x16x32_fp8_fp8 v[152:155], a[62:63], v[190:191], v[152:155]// 000000003A78: D3F30098 0E637D3E
	v_mfma_f32_16x16x32_fp8_fp8 v[156:159], a[48:49], v[192:193], v[156:159]// 000000003A80: D3F3009C 0E738130
	v_mfma_f32_16x16x32_fp8_fp8 v[156:159], a[50:51], v[194:195], v[156:159]// 000000003A88: D3F3009C 0E738532
	buffer_load_dwordx4 a[152:155], v37, s[92:95], 0 offen offset:2048// 000000003A90: E05C1800 80979825
	v_mfma_f32_16x16x32_fp8_fp8 v[156:159], a[52:53], v[196:197], v[156:159]// 000000003A98: D3F3009C 0E738934
	v_mfma_f32_16x16x32_fp8_fp8 v[156:159], a[54:55], v[198:199], v[156:159]// 000000003AA0: D3F3009C 0E738D36
	v_mfma_f32_16x16x32_fp8_fp8 v[156:159], a[56:57], v[200:201], v[156:159]// 000000003AA8: D3F3009C 0E739138
	v_mfma_f32_16x16x32_fp8_fp8 v[156:159], a[58:59], v[202:203], v[156:159]// 000000003AB0: D3F3009C 0E73953A
	buffer_load_dwordx4 a[156:159], v37, s[92:95], 0 offen offset:3072// 000000003AB8: E05C1C00 80979C25
	v_mfma_f32_16x16x32_fp8_fp8 v[156:159], a[60:61], v[204:205], v[156:159]// 000000003AC0: D3F3009C 0E73993C
	v_mfma_f32_16x16x32_fp8_fp8 v[156:159], a[62:63], v[206:207], v[156:159]// 000000003AC8: D3F3009C 0E739D3E
	s_waitcnt vmcnt(28)                                        // 000000003AD0: BF8C4F7C
	v_mfma_f32_16x16x32_fp8_fp8 v[160:163], a[64:65], v[176:177], v[160:163]// 000000003AD4: D3F300A0 0E836140
	v_mfma_f32_16x16x32_fp8_fp8 v[160:163], a[66:67], v[178:179], v[160:163]// 000000003ADC: D3F300A0 0E836542
	buffer_load_dwordx4 a[160:163], v38, s[92:95], 0 offen     // 000000003AE4: E05C1000 8097A026
	v_mfma_f32_16x16x32_fp8_fp8 v[160:163], a[68:69], v[180:181], v[160:163]// 000000003AEC: D3F300A0 0E836944
	v_mfma_f32_16x16x32_fp8_fp8 v[160:163], a[70:71], v[182:183], v[160:163]// 000000003AF4: D3F300A0 0E836D46
	v_mfma_f32_16x16x32_fp8_fp8 v[160:163], a[72:73], v[184:185], v[160:163]// 000000003AFC: D3F300A0 0E837148
	v_mfma_f32_16x16x32_fp8_fp8 v[160:163], a[74:75], v[186:187], v[160:163]// 000000003B04: D3F300A0 0E83754A
	buffer_load_dwordx4 a[164:167], v38, s[92:95], 0 offen offset:1024// 000000003B0C: E05C1400 8097A426
	v_mfma_f32_16x16x32_fp8_fp8 v[160:163], a[76:77], v[188:189], v[160:163]// 000000003B14: D3F300A0 0E83794C
	v_mfma_f32_16x16x32_fp8_fp8 v[160:163], a[78:79], v[190:191], v[160:163]// 000000003B1C: D3F300A0 0E837D4E
	v_mfma_f32_16x16x32_fp8_fp8 v[164:167], a[64:65], v[192:193], v[164:167]// 000000003B24: D3F300A4 0E938140
	v_mfma_f32_16x16x32_fp8_fp8 v[164:167], a[66:67], v[194:195], v[164:167]// 000000003B2C: D3F300A4 0E938542
	buffer_load_dwordx4 a[168:171], v38, s[92:95], 0 offen offset:2048// 000000003B34: E05C1800 8097A826
	v_mfma_f32_16x16x32_fp8_fp8 v[164:167], a[68:69], v[196:197], v[164:167]// 000000003B3C: D3F300A4 0E938944
	v_mfma_f32_16x16x32_fp8_fp8 v[164:167], a[70:71], v[198:199], v[164:167]// 000000003B44: D3F300A4 0E938D46
	v_mfma_f32_16x16x32_fp8_fp8 v[164:167], a[72:73], v[200:201], v[164:167]// 000000003B4C: D3F300A4 0E939148
	v_mfma_f32_16x16x32_fp8_fp8 v[164:167], a[74:75], v[202:203], v[164:167]// 000000003B54: D3F300A4 0E93954A
	buffer_load_dwordx4 a[172:175], v38, s[92:95], 0 offen offset:3072// 000000003B5C: E05C1C00 8097AC26
	v_mfma_f32_16x16x32_fp8_fp8 v[164:167], a[76:77], v[204:205], v[164:167]// 000000003B64: D3F300A4 0E93994C
	v_mfma_f32_16x16x32_fp8_fp8 v[164:167], a[78:79], v[206:207], v[164:167]// 000000003B6C: D3F300A4 0E939D4E
	s_waitcnt vmcnt(28)                                        // 000000003B74: BF8C4F7C
	v_mfma_f32_16x16x32_fp8_fp8 v[168:171], a[80:81], v[176:177], v[168:171]// 000000003B78: D3F300A8 0EA36150
	v_mfma_f32_16x16x32_fp8_fp8 v[168:171], a[82:83], v[178:179], v[168:171]// 000000003B80: D3F300A8 0EA36552
	buffer_load_dwordx4 a[176:179], v39, s[92:95], 0 offen     // 000000003B88: E05C1000 8097B027
	v_mfma_f32_16x16x32_fp8_fp8 v[168:171], a[84:85], v[180:181], v[168:171]// 000000003B90: D3F300A8 0EA36954
	v_mfma_f32_16x16x32_fp8_fp8 v[168:171], a[86:87], v[182:183], v[168:171]// 000000003B98: D3F300A8 0EA36D56
	v_mfma_f32_16x16x32_fp8_fp8 v[168:171], a[88:89], v[184:185], v[168:171]// 000000003BA0: D3F300A8 0EA37158
	v_mfma_f32_16x16x32_fp8_fp8 v[168:171], a[90:91], v[186:187], v[168:171]// 000000003BA8: D3F300A8 0EA3755A
	buffer_load_dwordx4 a[180:183], v39, s[92:95], 0 offen offset:1024// 000000003BB0: E05C1400 8097B427
	v_mfma_f32_16x16x32_fp8_fp8 v[168:171], a[92:93], v[188:189], v[168:171]// 000000003BB8: D3F300A8 0EA3795C
	v_mfma_f32_16x16x32_fp8_fp8 v[168:171], a[94:95], v[190:191], v[168:171]// 000000003BC0: D3F300A8 0EA37D5E
	v_mfma_f32_16x16x32_fp8_fp8 v[172:175], a[80:81], v[192:193], v[172:175]// 000000003BC8: D3F300AC 0EB38150
	v_mfma_f32_16x16x32_fp8_fp8 v[172:175], a[82:83], v[194:195], v[172:175]// 000000003BD0: D3F300AC 0EB38552
	buffer_load_dwordx4 a[184:187], v39, s[92:95], 0 offen offset:2048// 000000003BD8: E05C1800 8097B827
	v_mfma_f32_16x16x32_fp8_fp8 v[172:175], a[84:85], v[196:197], v[172:175]// 000000003BE0: D3F300AC 0EB38954
	v_mfma_f32_16x16x32_fp8_fp8 v[172:175], a[86:87], v[198:199], v[172:175]// 000000003BE8: D3F300AC 0EB38D56
	v_mfma_f32_16x16x32_fp8_fp8 v[172:175], a[88:89], v[200:201], v[172:175]// 000000003BF0: D3F300AC 0EB39158
	v_mfma_f32_16x16x32_fp8_fp8 v[172:175], a[90:91], v[202:203], v[172:175]// 000000003BF8: D3F300AC 0EB3955A
	buffer_load_dwordx4 a[188:191], v39, s[92:95], 0 offen offset:3072// 000000003C00: E05C1C00 8097BC27
	v_mfma_f32_16x16x32_fp8_fp8 v[172:175], a[92:93], v[204:205], v[172:175]// 000000003C08: D3F300AC 0EB3995C
	v_mfma_f32_16x16x32_fp8_fp8 v[172:175], a[94:95], v[206:207], v[172:175]// 000000003C10: D3F300AC 0EB39D5E
	s_waitcnt vmcnt(16)                                        // 000000003C18: BF8C4F70
	s_barrier                                                  // 000000003C1C: BF8A0000
	v_mfma_f32_16x16x32_fp8_fp8 v[64:67], a[96:97], v[176:177], v[64:67]// 000000003C20: D3F30040 0D036160
	v_mfma_f32_16x16x32_fp8_fp8 v[64:67], a[98:99], v[178:179], v[64:67]// 000000003C28: D3F30040 0D036562
	buffer_load_dwordx4 a[0:3], v34, s[24:27], 0 offen         // 000000003C30: E05C1000 80860022
	v_mfma_f32_16x16x32_fp8_fp8 v[64:67], a[100:101], v[180:181], v[64:67]// 000000003C38: D3F30040 0D036964
	v_mfma_f32_16x16x32_fp8_fp8 v[64:67], a[102:103], v[182:183], v[64:67]// 000000003C40: D3F30040 0D036D66
	v_mfma_f32_16x16x32_fp8_fp8 v[64:67], a[104:105], v[184:185], v[64:67]// 000000003C48: D3F30040 0D037168
	v_mfma_f32_16x16x32_fp8_fp8 v[64:67], a[106:107], v[186:187], v[64:67]// 000000003C50: D3F30040 0D03756A
	buffer_load_dwordx4 a[4:7], v34, s[24:27], 0 offen offset:1024// 000000003C58: E05C1400 80860422
	v_mfma_f32_16x16x32_fp8_fp8 v[64:67], a[108:109], v[188:189], v[64:67]// 000000003C60: D3F30040 0D03796C
	v_mfma_f32_16x16x32_fp8_fp8 v[64:67], a[110:111], v[190:191], v[64:67]// 000000003C68: D3F30040 0D037D6E
	v_mfma_f32_16x16x32_fp8_fp8 v[68:71], a[96:97], v[192:193], v[68:71]// 000000003C70: D3F30044 0D138160
	v_mfma_f32_16x16x32_fp8_fp8 v[68:71], a[98:99], v[194:195], v[68:71]// 000000003C78: D3F30044 0D138562
	buffer_load_dwordx4 a[8:11], v34, s[24:27], 0 offen offset:2048// 000000003C80: E05C1800 80860822
	v_mfma_f32_16x16x32_fp8_fp8 v[68:71], a[100:101], v[196:197], v[68:71]// 000000003C88: D3F30044 0D138964
	v_mfma_f32_16x16x32_fp8_fp8 v[68:71], a[102:103], v[198:199], v[68:71]// 000000003C90: D3F30044 0D138D66
	v_mfma_f32_16x16x32_fp8_fp8 v[68:71], a[104:105], v[200:201], v[68:71]// 000000003C98: D3F30044 0D139168
	v_mfma_f32_16x16x32_fp8_fp8 v[68:71], a[106:107], v[202:203], v[68:71]// 000000003CA0: D3F30044 0D13956A
	buffer_load_dwordx4 a[12:15], v34, s[24:27], 0 offen offset:3072// 000000003CA8: E05C1C00 80860C22
	v_mfma_f32_16x16x32_fp8_fp8 v[68:71], a[108:109], v[204:205], v[68:71]// 000000003CB0: D3F30044 0D13996C
	v_mfma_f32_16x16x32_fp8_fp8 v[68:71], a[110:111], v[206:207], v[68:71]// 000000003CB8: D3F30044 0D139D6E
	v_mfma_f32_16x16x32_fp8_fp8 v[72:75], a[112:113], v[176:177], v[72:75]// 000000003CC0: D3F30048 0D236170
	v_mfma_f32_16x16x32_fp8_fp8 v[72:75], a[114:115], v[178:179], v[72:75]// 000000003CC8: D3F30048 0D236572
	buffer_load_dwordx4 a[16:19], v35, s[24:27], 0 offen       // 000000003CD0: E05C1000 80861023
	v_mfma_f32_16x16x32_fp8_fp8 v[72:75], a[116:117], v[180:181], v[72:75]// 000000003CD8: D3F30048 0D236974
	v_mfma_f32_16x16x32_fp8_fp8 v[72:75], a[118:119], v[182:183], v[72:75]// 000000003CE0: D3F30048 0D236D76
	v_mfma_f32_16x16x32_fp8_fp8 v[72:75], a[120:121], v[184:185], v[72:75]// 000000003CE8: D3F30048 0D237178
	v_mfma_f32_16x16x32_fp8_fp8 v[72:75], a[122:123], v[186:187], v[72:75]// 000000003CF0: D3F30048 0D23757A
	buffer_load_dwordx4 a[20:23], v35, s[24:27], 0 offen offset:1024// 000000003CF8: E05C1400 80861423
	v_mfma_f32_16x16x32_fp8_fp8 v[72:75], a[124:125], v[188:189], v[72:75]// 000000003D00: D3F30048 0D23797C
	v_mfma_f32_16x16x32_fp8_fp8 v[72:75], a[126:127], v[190:191], v[72:75]// 000000003D08: D3F30048 0D237D7E
	v_mfma_f32_16x16x32_fp8_fp8 v[76:79], a[112:113], v[192:193], v[76:79]// 000000003D10: D3F3004C 0D338170
	v_mfma_f32_16x16x32_fp8_fp8 v[76:79], a[114:115], v[194:195], v[76:79]// 000000003D18: D3F3004C 0D338572
	buffer_load_dwordx4 a[24:27], v35, s[24:27], 0 offen offset:2048// 000000003D20: E05C1800 80861823
	v_mfma_f32_16x16x32_fp8_fp8 v[76:79], a[116:117], v[196:197], v[76:79]// 000000003D28: D3F3004C 0D338974
	v_mfma_f32_16x16x32_fp8_fp8 v[76:79], a[118:119], v[198:199], v[76:79]// 000000003D30: D3F3004C 0D338D76
	v_mfma_f32_16x16x32_fp8_fp8 v[76:79], a[120:121], v[200:201], v[76:79]// 000000003D38: D3F3004C 0D339178
	v_mfma_f32_16x16x32_fp8_fp8 v[76:79], a[122:123], v[202:203], v[76:79]// 000000003D40: D3F3004C 0D33957A
	buffer_load_dwordx4 a[28:31], v35, s[24:27], 0 offen offset:3072// 000000003D48: E05C1C00 80861C23
	v_mfma_f32_16x16x32_fp8_fp8 v[76:79], a[124:125], v[204:205], v[76:79]// 000000003D50: D3F3004C 0D33997C
	v_mfma_f32_16x16x32_fp8_fp8 v[76:79], a[126:127], v[206:207], v[76:79]// 000000003D58: D3F3004C 0D339D7E
	s_waitcnt vmcnt(20)                                        // 000000003D60: BF8C4F74
	v_mfma_f32_16x16x32_fp8_fp8 v[80:83], a[128:129], v[176:177], v[80:83]// 000000003D64: D3F30050 0D436180
	v_mfma_f32_16x16x32_fp8_fp8 v[80:83], a[130:131], v[178:179], v[80:83]// 000000003D6C: D3F30050 0D436582
	buffer_load_dwordx4 a[32:35], v36, s[24:27], 0 offen       // 000000003D74: E05C1000 80862024
	v_mfma_f32_16x16x32_fp8_fp8 v[80:83], a[132:133], v[180:181], v[80:83]// 000000003D7C: D3F30050 0D436984
	v_mfma_f32_16x16x32_fp8_fp8 v[80:83], a[134:135], v[182:183], v[80:83]// 000000003D84: D3F30050 0D436D86
	ds_read_b128 v[208:211], v2 offset:8320                    // 000000003D8C: D9FE2080 D0000002
	v_mfma_f32_16x16x32_fp8_fp8 v[80:83], a[136:137], v[184:185], v[80:83]// 000000003D94: D3F30050 0D437188
	v_mfma_f32_16x16x32_fp8_fp8 v[80:83], a[138:139], v[186:187], v[80:83]// 000000003D9C: D3F30050 0D43758A
	buffer_load_dwordx4 a[36:39], v36, s[24:27], 0 offen offset:1024// 000000003DA4: E05C1400 80862424
	v_mfma_f32_16x16x32_fp8_fp8 v[80:83], a[140:141], v[188:189], v[80:83]// 000000003DAC: D3F30050 0D43798C
	v_mfma_f32_16x16x32_fp8_fp8 v[80:83], a[142:143], v[190:191], v[80:83]// 000000003DB4: D3F30050 0D437D8E
	ds_read_b128 v[212:215], v2 offset:8384                    // 000000003DBC: D9FE20C0 D4000002
	v_mfma_f32_16x16x32_fp8_fp8 v[84:87], a[128:129], v[192:193], v[84:87]// 000000003DC4: D3F30054 0D538180
	v_mfma_f32_16x16x32_fp8_fp8 v[84:87], a[130:131], v[194:195], v[84:87]// 000000003DCC: D3F30054 0D538582
	buffer_load_dwordx4 a[40:43], v36, s[24:27], 0 offen offset:2048// 000000003DD4: E05C1800 80862824
	v_mfma_f32_16x16x32_fp8_fp8 v[84:87], a[132:133], v[196:197], v[84:87]// 000000003DDC: D3F30054 0D538984
	v_mfma_f32_16x16x32_fp8_fp8 v[84:87], a[134:135], v[198:199], v[84:87]// 000000003DE4: D3F30054 0D538D86
	ds_read_b128 v[216:219], v2 offset:8448                    // 000000003DEC: D9FE2100 D8000002
	v_mfma_f32_16x16x32_fp8_fp8 v[84:87], a[136:137], v[200:201], v[84:87]// 000000003DF4: D3F30054 0D539188
	v_mfma_f32_16x16x32_fp8_fp8 v[84:87], a[138:139], v[202:203], v[84:87]// 000000003DFC: D3F30054 0D53958A
	buffer_load_dwordx4 a[44:47], v36, s[24:27], 0 offen offset:3072// 000000003E04: E05C1C00 80862C24
	v_mfma_f32_16x16x32_fp8_fp8 v[84:87], a[140:141], v[204:205], v[84:87]// 000000003E0C: D3F30054 0D53998C
	v_mfma_f32_16x16x32_fp8_fp8 v[84:87], a[142:143], v[206:207], v[84:87]// 000000003E14: D3F30054 0D539D8E
	ds_read_b128 v[220:223], v2 offset:8512                    // 000000003E1C: D9FE2140 DC000002
	s_waitcnt vmcnt(20)                                        // 000000003E24: BF8C4F74
	v_mfma_f32_16x16x32_fp8_fp8 v[88:91], a[144:145], v[176:177], v[88:91]// 000000003E28: D3F30058 0D636190
	v_mfma_f32_16x16x32_fp8_fp8 v[88:91], a[146:147], v[178:179], v[88:91]// 000000003E30: D3F30058 0D636592
	buffer_load_dwordx4 a[48:51], v37, s[24:27], 0 offen       // 000000003E38: E05C1000 80863025
	v_mfma_f32_16x16x32_fp8_fp8 v[88:91], a[148:149], v[180:181], v[88:91]// 000000003E40: D3F30058 0D636994
	v_mfma_f32_16x16x32_fp8_fp8 v[88:91], a[150:151], v[182:183], v[88:91]// 000000003E48: D3F30058 0D636D96
	ds_read_b128 v[224:227], v2 offset:9344                    // 000000003E50: D9FE2480 E0000002
	v_mfma_f32_16x16x32_fp8_fp8 v[88:91], a[152:153], v[184:185], v[88:91]// 000000003E58: D3F30058 0D637198
	v_mfma_f32_16x16x32_fp8_fp8 v[88:91], a[154:155], v[186:187], v[88:91]// 000000003E60: D3F30058 0D63759A
	buffer_load_dwordx4 a[52:55], v37, s[24:27], 0 offen offset:1024// 000000003E68: E05C1400 80863425
	v_mfma_f32_16x16x32_fp8_fp8 v[88:91], a[156:157], v[188:189], v[88:91]// 000000003E70: D3F30058 0D63799C
	v_mfma_f32_16x16x32_fp8_fp8 v[88:91], a[158:159], v[190:191], v[88:91]// 000000003E78: D3F30058 0D637D9E
	ds_read_b128 v[228:231], v2 offset:9408                    // 000000003E80: D9FE24C0 E4000002
	v_mfma_f32_16x16x32_fp8_fp8 v[92:95], a[144:145], v[192:193], v[92:95]// 000000003E88: D3F3005C 0D738190
	v_mfma_f32_16x16x32_fp8_fp8 v[92:95], a[146:147], v[194:195], v[92:95]// 000000003E90: D3F3005C 0D738592
	buffer_load_dwordx4 a[56:59], v37, s[24:27], 0 offen offset:2048// 000000003E98: E05C1800 80863825
	v_mfma_f32_16x16x32_fp8_fp8 v[92:95], a[148:149], v[196:197], v[92:95]// 000000003EA0: D3F3005C 0D738994
	v_mfma_f32_16x16x32_fp8_fp8 v[92:95], a[150:151], v[198:199], v[92:95]// 000000003EA8: D3F3005C 0D738D96
	ds_read_b128 v[232:235], v2 offset:9472                    // 000000003EB0: D9FE2500 E8000002
	v_mfma_f32_16x16x32_fp8_fp8 v[92:95], a[152:153], v[200:201], v[92:95]// 000000003EB8: D3F3005C 0D739198
	v_mfma_f32_16x16x32_fp8_fp8 v[92:95], a[154:155], v[202:203], v[92:95]// 000000003EC0: D3F3005C 0D73959A
	buffer_load_dwordx4 a[60:63], v37, s[24:27], 0 offen offset:3072// 000000003EC8: E05C1C00 80863C25
	v_mfma_f32_16x16x32_fp8_fp8 v[92:95], a[156:157], v[204:205], v[92:95]// 000000003ED0: D3F3005C 0D73999C
	v_mfma_f32_16x16x32_fp8_fp8 v[92:95], a[158:159], v[206:207], v[92:95]// 000000003ED8: D3F3005C 0D739D9E
	ds_read_b128 v[236:239], v2 offset:9536                    // 000000003EE0: D9FE2540 EC000002
	s_waitcnt vmcnt(20)                                        // 000000003EE8: BF8C4F74
	v_mfma_f32_16x16x32_fp8_fp8 v[96:99], a[160:161], v[176:177], v[96:99]// 000000003EEC: D3F30060 0D8361A0
	v_mfma_f32_16x16x32_fp8_fp8 v[96:99], a[162:163], v[178:179], v[96:99]// 000000003EF4: D3F30060 0D8365A2
	buffer_load_dwordx4 a[64:67], v38, s[24:27], 0 offen       // 000000003EFC: E05C1000 80864026
	v_mfma_f32_16x16x32_fp8_fp8 v[96:99], a[164:165], v[180:181], v[96:99]// 000000003F04: D3F30060 0D8369A4
	v_mfma_f32_16x16x32_fp8_fp8 v[96:99], a[166:167], v[182:183], v[96:99]// 000000003F0C: D3F30060 0D836DA6
	v_mfma_f32_16x16x32_fp8_fp8 v[96:99], a[168:169], v[184:185], v[96:99]// 000000003F14: D3F30060 0D8371A8
	v_mfma_f32_16x16x32_fp8_fp8 v[96:99], a[170:171], v[186:187], v[96:99]// 000000003F1C: D3F30060 0D8375AA
	buffer_load_dwordx4 a[68:71], v38, s[24:27], 0 offen offset:1024// 000000003F24: E05C1400 80864426
	v_mfma_f32_16x16x32_fp8_fp8 v[96:99], a[172:173], v[188:189], v[96:99]// 000000003F2C: D3F30060 0D8379AC
	v_mfma_f32_16x16x32_fp8_fp8 v[96:99], a[174:175], v[190:191], v[96:99]// 000000003F34: D3F30060 0D837DAE
	v_mfma_f32_16x16x32_fp8_fp8 v[100:103], a[160:161], v[192:193], v[100:103]// 000000003F3C: D3F30064 0D9381A0
	v_mfma_f32_16x16x32_fp8_fp8 v[100:103], a[162:163], v[194:195], v[100:103]// 000000003F44: D3F30064 0D9385A2
	buffer_load_dwordx4 a[72:75], v38, s[24:27], 0 offen offset:2048// 000000003F4C: E05C1800 80864826
	v_mfma_f32_16x16x32_fp8_fp8 v[100:103], a[164:165], v[196:197], v[100:103]// 000000003F54: D3F30064 0D9389A4
	v_mfma_f32_16x16x32_fp8_fp8 v[100:103], a[166:167], v[198:199], v[100:103]// 000000003F5C: D3F30064 0D938DA6
	v_mfma_f32_16x16x32_fp8_fp8 v[100:103], a[168:169], v[200:201], v[100:103]// 000000003F64: D3F30064 0D9391A8
	v_mfma_f32_16x16x32_fp8_fp8 v[100:103], a[170:171], v[202:203], v[100:103]// 000000003F6C: D3F30064 0D9395AA
	buffer_load_dwordx4 a[76:79], v38, s[24:27], 0 offen offset:3072// 000000003F74: E05C1C00 80864C26
	v_mfma_f32_16x16x32_fp8_fp8 v[100:103], a[172:173], v[204:205], v[100:103]// 000000003F7C: D3F30064 0D9399AC
	v_mfma_f32_16x16x32_fp8_fp8 v[100:103], a[174:175], v[206:207], v[100:103]// 000000003F84: D3F30064 0D939DAE
	s_waitcnt vmcnt(20)                                        // 000000003F8C: BF8C4F74
	v_mfma_f32_16x16x32_fp8_fp8 v[104:107], a[176:177], v[176:177], v[104:107]// 000000003F90: D3F30068 0DA361B0
	v_mfma_f32_16x16x32_fp8_fp8 v[104:107], a[178:179], v[178:179], v[104:107]// 000000003F98: D3F30068 0DA365B2
	buffer_load_dwordx4 a[80:83], v39, s[24:27], 0 offen       // 000000003FA0: E05C1000 80865027
	v_mfma_f32_16x16x32_fp8_fp8 v[104:107], a[180:181], v[180:181], v[104:107]// 000000003FA8: D3F30068 0DA369B4
	v_mfma_f32_16x16x32_fp8_fp8 v[104:107], a[182:183], v[182:183], v[104:107]// 000000003FB0: D3F30068 0DA36DB6
	v_mfma_f32_16x16x32_fp8_fp8 v[104:107], a[184:185], v[184:185], v[104:107]// 000000003FB8: D3F30068 0DA371B8
	v_mfma_f32_16x16x32_fp8_fp8 v[104:107], a[186:187], v[186:187], v[104:107]// 000000003FC0: D3F30068 0DA375BA
	buffer_load_dwordx4 a[84:87], v39, s[24:27], 0 offen offset:1024// 000000003FC8: E05C1400 80865427
	v_mfma_f32_16x16x32_fp8_fp8 v[104:107], a[188:189], v[188:189], v[104:107]// 000000003FD0: D3F30068 0DA379BC
	v_mfma_f32_16x16x32_fp8_fp8 v[104:107], a[190:191], v[190:191], v[104:107]// 000000003FD8: D3F30068 0DA37DBE
	v_mfma_f32_16x16x32_fp8_fp8 v[108:111], a[176:177], v[192:193], v[108:111]// 000000003FE0: D3F3006C 0DB381B0
	v_mfma_f32_16x16x32_fp8_fp8 v[108:111], a[178:179], v[194:195], v[108:111]// 000000003FE8: D3F3006C 0DB385B2
	buffer_load_dwordx4 a[88:91], v39, s[24:27], 0 offen offset:2048// 000000003FF0: E05C1800 80865827
	v_mfma_f32_16x16x32_fp8_fp8 v[108:111], a[180:181], v[196:197], v[108:111]// 000000003FF8: D3F3006C 0DB389B4
	v_mfma_f32_16x16x32_fp8_fp8 v[108:111], a[182:183], v[198:199], v[108:111]// 000000004000: D3F3006C 0DB38DB6
	v_mfma_f32_16x16x32_fp8_fp8 v[108:111], a[184:185], v[200:201], v[108:111]// 000000004008: D3F3006C 0DB391B8
	v_mfma_f32_16x16x32_fp8_fp8 v[108:111], a[186:187], v[202:203], v[108:111]// 000000004010: D3F3006C 0DB395BA
	buffer_load_dwordx4 a[92:95], v39, s[24:27], 0 offen offset:3072// 000000004018: E05C1C00 80865C27
	v_mfma_f32_16x16x32_fp8_fp8 v[108:111], a[188:189], v[204:205], v[108:111]// 000000004020: D3F3006C 0DB399BC
	v_mfma_f32_16x16x32_fp8_fp8 v[108:111], a[190:191], v[206:207], v[108:111]// 000000004028: D3F3006C 0DB39DBE
	s_add_u32 s60, 0x200, s80                                  // 000000004030: 803C50FF 00000200
	s_cmp_lt_u32 s60, s81                                      // 000000004038: BF0A513C
	s_cselect_b32 s57, s57, 0                                  // 00000000403C: 85398039
	s_add_u32 s60, 0x200, s80                                  // 000000004040: 803C50FF 00000200
	s_cmp_lt_u32 s60, s81                                      // 000000004048: BF0A513C
	s_cselect_b32 s58, s58, 0                                  // 00000000404C: 853A803A
	s_add_u32 s20, s57, s20                                    // 000000004050: 80141439
	s_addc_u32 s21, 0, s21                                     // 000000004054: 82151580
	s_add_u32 s24, s58, s24                                    // 000000004058: 8018183A
	s_addc_u32 s25, 0, s25                                     // 00000000405C: 82191980
	s_add_u32 s92, s90, s92                                    // 000000004060: 805C5C5A
	s_addc_u32 s93, 0, s93                                     // 000000004064: 825D5D80
	s_addk_i32 s80, 0x100                                      // 000000004068: B7500100
	s_cmp_lt_i32 s80, s81                                      // 00000000406C: BF045150
	s_cbranch_scc0 label_06CA                                  // 000000004070: BF84022D
	s_waitcnt vmcnt(16) lgkmcnt(0)                             // 000000004074: BF8C4070
	s_barrier                                                  // 000000004078: BF8A0000
	v_mfma_f32_16x16x32_fp8_fp8 v[128:131], a[0:1], v[208:209], v[128:131]// 00000000407C: D3F30080 0E03A100
	v_mfma_f32_16x16x32_fp8_fp8 v[128:131], a[2:3], v[210:211], v[128:131]// 000000004084: D3F30080 0E03A502
	buffer_load_dwordx4 a[96:99], v34, s[92:95], 0 offen       // 00000000408C: E05C1000 80976022
	v_mfma_f32_16x16x32_fp8_fp8 v[128:131], a[4:5], v[212:213], v[128:131]// 000000004094: D3F30080 0E03A904
	v_mfma_f32_16x16x32_fp8_fp8 v[128:131], a[6:7], v[214:215], v[128:131]// 00000000409C: D3F30080 0E03AD06
	buffer_load_dword v26, s[20:23], 0 offen lds               // 0000000040A4: E0511000 8005001A
	s_add_u32 m0, 0x100, s50                                   // 0000000040AC: 807C32FF 00000100
	v_mfma_f32_16x16x32_fp8_fp8 v[128:131], a[8:9], v[216:217], v[128:131]// 0000000040B4: D3F30080 0E03B108
	v_mfma_f32_16x16x32_fp8_fp8 v[128:131], a[10:11], v[218:219], v[128:131]// 0000000040BC: D3F30080 0E03B50A
	buffer_load_dwordx4 a[100:103], v34, s[92:95], 0 offen offset:1024// 0000000040C4: E05C1400 80976422
	v_mfma_f32_16x16x32_fp8_fp8 v[128:131], a[12:13], v[220:221], v[128:131]// 0000000040CC: D3F30080 0E03B90C
	v_mfma_f32_16x16x32_fp8_fp8 v[128:131], a[14:15], v[222:223], v[128:131]// 0000000040D4: D3F30080 0E03BD0E
	buffer_load_dword v27, s[20:23], 0 offen lds               // 0000000040DC: E0511000 8005001B
	s_add_u32 m0, 0x200, s50                                   // 0000000040E4: 807C32FF 00000200
	v_mfma_f32_16x16x32_fp8_fp8 v[132:135], a[0:1], v[224:225], v[132:135]// 0000000040EC: D3F30084 0E13C100
	v_mfma_f32_16x16x32_fp8_fp8 v[132:135], a[2:3], v[226:227], v[132:135]// 0000000040F4: D3F30084 0E13C502
	buffer_load_dwordx4 a[104:107], v34, s[92:95], 0 offen offset:2048// 0000000040FC: E05C1800 80976822
	v_mfma_f32_16x16x32_fp8_fp8 v[132:135], a[4:5], v[228:229], v[132:135]// 000000004104: D3F30084 0E13C904
	v_mfma_f32_16x16x32_fp8_fp8 v[132:135], a[6:7], v[230:231], v[132:135]// 00000000410C: D3F30084 0E13CD06
	buffer_load_dword v28, s[20:23], 0 offen lds               // 000000004114: E0511000 8005001C
	s_add_u32 m0, 0x300, s50                                   // 00000000411C: 807C32FF 00000300
	v_mfma_f32_16x16x32_fp8_fp8 v[132:135], a[8:9], v[232:233], v[132:135]// 000000004124: D3F30084 0E13D108
	v_mfma_f32_16x16x32_fp8_fp8 v[132:135], a[10:11], v[234:235], v[132:135]// 00000000412C: D3F30084 0E13D50A
	buffer_load_dwordx4 a[108:111], v34, s[92:95], 0 offen offset:3072// 000000004134: E05C1C00 80976C22
	v_mfma_f32_16x16x32_fp8_fp8 v[132:135], a[12:13], v[236:237], v[132:135]// 00000000413C: D3F30084 0E13D90C
	v_mfma_f32_16x16x32_fp8_fp8 v[132:135], a[14:15], v[238:239], v[132:135]// 000000004144: D3F30084 0E13DD0E
	buffer_load_dword v29, s[20:23], 0 offen lds               // 00000000414C: E0511000 8005001D
	s_add_u32 m0, 0x400, s50                                   // 000000004154: 807C32FF 00000400
	v_mfma_f32_16x16x32_fp8_fp8 v[136:139], a[16:17], v[208:209], v[136:139]// 00000000415C: D3F30088 0E23A110
	v_mfma_f32_16x16x32_fp8_fp8 v[136:139], a[18:19], v[210:211], v[136:139]// 000000004164: D3F30088 0E23A512
	buffer_load_dwordx4 a[112:115], v35, s[92:95], 0 offen     // 00000000416C: E05C1000 80977023
	v_mfma_f32_16x16x32_fp8_fp8 v[136:139], a[20:21], v[212:213], v[136:139]// 000000004174: D3F30088 0E23A914
	v_mfma_f32_16x16x32_fp8_fp8 v[136:139], a[22:23], v[214:215], v[136:139]// 00000000417C: D3F30088 0E23AD16
	buffer_load_dword v30, s[20:23], 0 offen lds               // 000000004184: E0511000 8005001E
	s_add_u32 m0, 0x500, s50                                   // 00000000418C: 807C32FF 00000500
	v_mfma_f32_16x16x32_fp8_fp8 v[136:139], a[24:25], v[216:217], v[136:139]// 000000004194: D3F30088 0E23B118
	v_mfma_f32_16x16x32_fp8_fp8 v[136:139], a[26:27], v[218:219], v[136:139]// 00000000419C: D3F30088 0E23B51A
	buffer_load_dwordx4 a[116:119], v35, s[92:95], 0 offen offset:1024// 0000000041A4: E05C1400 80977423
	v_mfma_f32_16x16x32_fp8_fp8 v[136:139], a[28:29], v[220:221], v[136:139]// 0000000041AC: D3F30088 0E23B91C
	v_mfma_f32_16x16x32_fp8_fp8 v[136:139], a[30:31], v[222:223], v[136:139]// 0000000041B4: D3F30088 0E23BD1E
	buffer_load_dword v31, s[20:23], 0 offen lds               // 0000000041BC: E0511000 8005001F
	s_add_u32 m0, 0x600, s50                                   // 0000000041C4: 807C32FF 00000600
	v_mfma_f32_16x16x32_fp8_fp8 v[140:143], a[16:17], v[224:225], v[140:143]// 0000000041CC: D3F3008C 0E33C110
	v_mfma_f32_16x16x32_fp8_fp8 v[140:143], a[18:19], v[226:227], v[140:143]// 0000000041D4: D3F3008C 0E33C512
	buffer_load_dwordx4 a[120:123], v35, s[92:95], 0 offen offset:2048// 0000000041DC: E05C1800 80977823
	v_mfma_f32_16x16x32_fp8_fp8 v[140:143], a[20:21], v[228:229], v[140:143]// 0000000041E4: D3F3008C 0E33C914
	v_mfma_f32_16x16x32_fp8_fp8 v[140:143], a[22:23], v[230:231], v[140:143]// 0000000041EC: D3F3008C 0E33CD16
	buffer_load_dword v32, s[20:23], 0 offen lds               // 0000000041F4: E0511000 80050020
	s_add_u32 m0, 0x700, s50                                   // 0000000041FC: 807C32FF 00000700
	v_mfma_f32_16x16x32_fp8_fp8 v[140:143], a[24:25], v[232:233], v[140:143]// 000000004204: D3F3008C 0E33D118
	v_mfma_f32_16x16x32_fp8_fp8 v[140:143], a[26:27], v[234:235], v[140:143]// 00000000420C: D3F3008C 0E33D51A
	buffer_load_dwordx4 a[124:127], v35, s[92:95], 0 offen offset:3072// 000000004214: E05C1C00 80977C23
	v_mfma_f32_16x16x32_fp8_fp8 v[140:143], a[28:29], v[236:237], v[140:143]// 00000000421C: D3F3008C 0E33D91C
	v_mfma_f32_16x16x32_fp8_fp8 v[140:143], a[30:31], v[238:239], v[140:143]// 000000004224: D3F3008C 0E33DD1E
	buffer_load_dword v33, s[20:23], 0 offen lds               // 00000000422C: E0511000 80050021
	s_add_u32 m0, 0, s51                                       // 000000004234: 807C3380
	s_waitcnt vmcnt(28)                                        // 000000004238: BF8C4F7C
	v_mfma_f32_16x16x32_fp8_fp8 v[144:147], a[32:33], v[208:209], v[144:147]// 00000000423C: D3F30090 0E43A120
	v_mfma_f32_16x16x32_fp8_fp8 v[144:147], a[34:35], v[210:211], v[144:147]// 000000004244: D3F30090 0E43A522
	buffer_load_dwordx4 a[128:131], v36, s[92:95], 0 offen     // 00000000424C: E05C1000 80978024
	v_mfma_f32_16x16x32_fp8_fp8 v[144:147], a[36:37], v[212:213], v[144:147]// 000000004254: D3F30090 0E43A924
	v_mfma_f32_16x16x32_fp8_fp8 v[144:147], a[38:39], v[214:215], v[144:147]// 00000000425C: D3F30090 0E43AD26
	v_mfma_f32_16x16x32_fp8_fp8 v[144:147], a[40:41], v[216:217], v[144:147]// 000000004264: D3F30090 0E43B128
	v_mfma_f32_16x16x32_fp8_fp8 v[144:147], a[42:43], v[218:219], v[144:147]// 00000000426C: D3F30090 0E43B52A
	buffer_load_dwordx4 a[132:135], v36, s[92:95], 0 offen offset:1024// 000000004274: E05C1400 80978424
	v_mfma_f32_16x16x32_fp8_fp8 v[144:147], a[44:45], v[220:221], v[144:147]// 00000000427C: D3F30090 0E43B92C
	v_mfma_f32_16x16x32_fp8_fp8 v[144:147], a[46:47], v[222:223], v[144:147]// 000000004284: D3F30090 0E43BD2E
	v_mfma_f32_16x16x32_fp8_fp8 v[148:151], a[32:33], v[224:225], v[148:151]// 00000000428C: D3F30094 0E53C120
	v_mfma_f32_16x16x32_fp8_fp8 v[148:151], a[34:35], v[226:227], v[148:151]// 000000004294: D3F30094 0E53C522
	buffer_load_dwordx4 a[136:139], v36, s[92:95], 0 offen offset:2048// 00000000429C: E05C1800 80978824
	v_mfma_f32_16x16x32_fp8_fp8 v[148:151], a[36:37], v[228:229], v[148:151]// 0000000042A4: D3F30094 0E53C924
	v_mfma_f32_16x16x32_fp8_fp8 v[148:151], a[38:39], v[230:231], v[148:151]// 0000000042AC: D3F30094 0E53CD26
	v_mfma_f32_16x16x32_fp8_fp8 v[148:151], a[40:41], v[232:233], v[148:151]// 0000000042B4: D3F30094 0E53D128
	v_mfma_f32_16x16x32_fp8_fp8 v[148:151], a[42:43], v[234:235], v[148:151]// 0000000042BC: D3F30094 0E53D52A
	buffer_load_dwordx4 a[140:143], v36, s[92:95], 0 offen offset:3072// 0000000042C4: E05C1C00 80978C24
	v_mfma_f32_16x16x32_fp8_fp8 v[148:151], a[44:45], v[236:237], v[148:151]// 0000000042CC: D3F30094 0E53D92C
	v_mfma_f32_16x16x32_fp8_fp8 v[148:151], a[46:47], v[238:239], v[148:151]// 0000000042D4: D3F30094 0E53DD2E
	s_waitcnt vmcnt(28)                                        // 0000000042DC: BF8C4F7C
	v_mfma_f32_16x16x32_fp8_fp8 v[152:155], a[48:49], v[208:209], v[152:155]// 0000000042E0: D3F30098 0E63A130
	v_mfma_f32_16x16x32_fp8_fp8 v[152:155], a[50:51], v[210:211], v[152:155]// 0000000042E8: D3F30098 0E63A532
	buffer_load_dwordx4 a[144:147], v37, s[92:95], 0 offen     // 0000000042F0: E05C1000 80979025
	v_mfma_f32_16x16x32_fp8_fp8 v[152:155], a[52:53], v[212:213], v[152:155]// 0000000042F8: D3F30098 0E63A934
	v_mfma_f32_16x16x32_fp8_fp8 v[152:155], a[54:55], v[214:215], v[152:155]// 000000004300: D3F30098 0E63AD36
	v_mfma_f32_16x16x32_fp8_fp8 v[152:155], a[56:57], v[216:217], v[152:155]// 000000004308: D3F30098 0E63B138
	v_mfma_f32_16x16x32_fp8_fp8 v[152:155], a[58:59], v[218:219], v[152:155]// 000000004310: D3F30098 0E63B53A
	buffer_load_dwordx4 a[148:151], v37, s[92:95], 0 offen offset:1024// 000000004318: E05C1400 80979425
	v_mfma_f32_16x16x32_fp8_fp8 v[152:155], a[60:61], v[220:221], v[152:155]// 000000004320: D3F30098 0E63B93C
	v_mfma_f32_16x16x32_fp8_fp8 v[152:155], a[62:63], v[222:223], v[152:155]// 000000004328: D3F30098 0E63BD3E
	v_mfma_f32_16x16x32_fp8_fp8 v[156:159], a[48:49], v[224:225], v[156:159]// 000000004330: D3F3009C 0E73C130
	v_mfma_f32_16x16x32_fp8_fp8 v[156:159], a[50:51], v[226:227], v[156:159]// 000000004338: D3F3009C 0E73C532
	buffer_load_dwordx4 a[152:155], v37, s[92:95], 0 offen offset:2048// 000000004340: E05C1800 80979825
	v_mfma_f32_16x16x32_fp8_fp8 v[156:159], a[52:53], v[228:229], v[156:159]// 000000004348: D3F3009C 0E73C934
	v_mfma_f32_16x16x32_fp8_fp8 v[156:159], a[54:55], v[230:231], v[156:159]// 000000004350: D3F3009C 0E73CD36
	v_mfma_f32_16x16x32_fp8_fp8 v[156:159], a[56:57], v[232:233], v[156:159]// 000000004358: D3F3009C 0E73D138
	v_mfma_f32_16x16x32_fp8_fp8 v[156:159], a[58:59], v[234:235], v[156:159]// 000000004360: D3F3009C 0E73D53A
	buffer_load_dwordx4 a[156:159], v37, s[92:95], 0 offen offset:3072// 000000004368: E05C1C00 80979C25
	v_mfma_f32_16x16x32_fp8_fp8 v[156:159], a[60:61], v[236:237], v[156:159]// 000000004370: D3F3009C 0E73D93C
	v_mfma_f32_16x16x32_fp8_fp8 v[156:159], a[62:63], v[238:239], v[156:159]// 000000004378: D3F3009C 0E73DD3E
	s_waitcnt vmcnt(28)                                        // 000000004380: BF8C4F7C
	v_mfma_f32_16x16x32_fp8_fp8 v[160:163], a[64:65], v[208:209], v[160:163]// 000000004384: D3F300A0 0E83A140
	v_mfma_f32_16x16x32_fp8_fp8 v[160:163], a[66:67], v[210:211], v[160:163]// 00000000438C: D3F300A0 0E83A542
	buffer_load_dwordx4 a[160:163], v38, s[92:95], 0 offen     // 000000004394: E05C1000 8097A026
	v_mfma_f32_16x16x32_fp8_fp8 v[160:163], a[68:69], v[212:213], v[160:163]// 00000000439C: D3F300A0 0E83A944
	v_mfma_f32_16x16x32_fp8_fp8 v[160:163], a[70:71], v[214:215], v[160:163]// 0000000043A4: D3F300A0 0E83AD46
	v_mfma_f32_16x16x32_fp8_fp8 v[160:163], a[72:73], v[216:217], v[160:163]// 0000000043AC: D3F300A0 0E83B148
	v_mfma_f32_16x16x32_fp8_fp8 v[160:163], a[74:75], v[218:219], v[160:163]// 0000000043B4: D3F300A0 0E83B54A
	buffer_load_dwordx4 a[164:167], v38, s[92:95], 0 offen offset:1024// 0000000043BC: E05C1400 8097A426
	v_mfma_f32_16x16x32_fp8_fp8 v[160:163], a[76:77], v[220:221], v[160:163]// 0000000043C4: D3F300A0 0E83B94C
	v_mfma_f32_16x16x32_fp8_fp8 v[160:163], a[78:79], v[222:223], v[160:163]// 0000000043CC: D3F300A0 0E83BD4E
	v_mfma_f32_16x16x32_fp8_fp8 v[164:167], a[64:65], v[224:225], v[164:167]// 0000000043D4: D3F300A4 0E93C140
	v_mfma_f32_16x16x32_fp8_fp8 v[164:167], a[66:67], v[226:227], v[164:167]// 0000000043DC: D3F300A4 0E93C542
	buffer_load_dwordx4 a[168:171], v38, s[92:95], 0 offen offset:2048// 0000000043E4: E05C1800 8097A826
	v_mfma_f32_16x16x32_fp8_fp8 v[164:167], a[68:69], v[228:229], v[164:167]// 0000000043EC: D3F300A4 0E93C944
	v_mfma_f32_16x16x32_fp8_fp8 v[164:167], a[70:71], v[230:231], v[164:167]// 0000000043F4: D3F300A4 0E93CD46
	v_mfma_f32_16x16x32_fp8_fp8 v[164:167], a[72:73], v[232:233], v[164:167]// 0000000043FC: D3F300A4 0E93D148
	v_mfma_f32_16x16x32_fp8_fp8 v[164:167], a[74:75], v[234:235], v[164:167]// 000000004404: D3F300A4 0E93D54A
	buffer_load_dwordx4 a[172:175], v38, s[92:95], 0 offen offset:3072// 00000000440C: E05C1C00 8097AC26
	v_mfma_f32_16x16x32_fp8_fp8 v[164:167], a[76:77], v[236:237], v[164:167]// 000000004414: D3F300A4 0E93D94C
	v_mfma_f32_16x16x32_fp8_fp8 v[164:167], a[78:79], v[238:239], v[164:167]// 00000000441C: D3F300A4 0E93DD4E
	s_waitcnt vmcnt(28)                                        // 000000004424: BF8C4F7C
	v_mfma_f32_16x16x32_fp8_fp8 v[168:171], a[80:81], v[208:209], v[168:171]// 000000004428: D3F300A8 0EA3A150
	v_mfma_f32_16x16x32_fp8_fp8 v[168:171], a[82:83], v[210:211], v[168:171]// 000000004430: D3F300A8 0EA3A552
	buffer_load_dwordx4 a[176:179], v39, s[92:95], 0 offen     // 000000004438: E05C1000 8097B027
	v_mfma_f32_16x16x32_fp8_fp8 v[168:171], a[84:85], v[212:213], v[168:171]// 000000004440: D3F300A8 0EA3A954
	v_mfma_f32_16x16x32_fp8_fp8 v[168:171], a[86:87], v[214:215], v[168:171]// 000000004448: D3F300A8 0EA3AD56
	v_mfma_f32_16x16x32_fp8_fp8 v[168:171], a[88:89], v[216:217], v[168:171]// 000000004450: D3F300A8 0EA3B158
	v_mfma_f32_16x16x32_fp8_fp8 v[168:171], a[90:91], v[218:219], v[168:171]// 000000004458: D3F300A8 0EA3B55A
	buffer_load_dwordx4 a[180:183], v39, s[92:95], 0 offen offset:1024// 000000004460: E05C1400 8097B427
	v_mfma_f32_16x16x32_fp8_fp8 v[168:171], a[92:93], v[220:221], v[168:171]// 000000004468: D3F300A8 0EA3B95C
	v_mfma_f32_16x16x32_fp8_fp8 v[168:171], a[94:95], v[222:223], v[168:171]// 000000004470: D3F300A8 0EA3BD5E
	v_mfma_f32_16x16x32_fp8_fp8 v[172:175], a[80:81], v[224:225], v[172:175]// 000000004478: D3F300AC 0EB3C150
	v_mfma_f32_16x16x32_fp8_fp8 v[172:175], a[82:83], v[226:227], v[172:175]// 000000004480: D3F300AC 0EB3C552
	buffer_load_dwordx4 a[184:187], v39, s[92:95], 0 offen offset:2048// 000000004488: E05C1800 8097B827
	v_mfma_f32_16x16x32_fp8_fp8 v[172:175], a[84:85], v[228:229], v[172:175]// 000000004490: D3F300AC 0EB3C954
	v_mfma_f32_16x16x32_fp8_fp8 v[172:175], a[86:87], v[230:231], v[172:175]// 000000004498: D3F300AC 0EB3CD56
	v_mfma_f32_16x16x32_fp8_fp8 v[172:175], a[88:89], v[232:233], v[172:175]// 0000000044A0: D3F300AC 0EB3D158
	v_mfma_f32_16x16x32_fp8_fp8 v[172:175], a[90:91], v[234:235], v[172:175]// 0000000044A8: D3F300AC 0EB3D55A
	buffer_load_dwordx4 a[188:191], v39, s[92:95], 0 offen offset:3072// 0000000044B0: E05C1C00 8097BC27
	v_mfma_f32_16x16x32_fp8_fp8 v[172:175], a[92:93], v[236:237], v[172:175]// 0000000044B8: D3F300AC 0EB3D95C
	v_mfma_f32_16x16x32_fp8_fp8 v[172:175], a[94:95], v[238:239], v[172:175]// 0000000044C0: D3F300AC 0EB3DD5E
	s_waitcnt vmcnt(16)                                        // 0000000044C8: BF8C4F70
	s_barrier                                                  // 0000000044CC: BF8A0000
	v_mfma_f32_16x16x32_fp8_fp8 v[64:67], a[96:97], v[208:209], v[64:67]// 0000000044D0: D3F30040 0D03A160
	v_mfma_f32_16x16x32_fp8_fp8 v[64:67], a[98:99], v[210:211], v[64:67]// 0000000044D8: D3F30040 0D03A562
	buffer_load_dwordx4 a[0:3], v34, s[24:27], 0 offen         // 0000000044E0: E05C1000 80860022
	v_mfma_f32_16x16x32_fp8_fp8 v[64:67], a[100:101], v[212:213], v[64:67]// 0000000044E8: D3F30040 0D03A964
	v_mfma_f32_16x16x32_fp8_fp8 v[64:67], a[102:103], v[214:215], v[64:67]// 0000000044F0: D3F30040 0D03AD66
	v_mfma_f32_16x16x32_fp8_fp8 v[64:67], a[104:105], v[216:217], v[64:67]// 0000000044F8: D3F30040 0D03B168
	v_mfma_f32_16x16x32_fp8_fp8 v[64:67], a[106:107], v[218:219], v[64:67]// 000000004500: D3F30040 0D03B56A
	buffer_load_dwordx4 a[4:7], v34, s[24:27], 0 offen offset:1024// 000000004508: E05C1400 80860422
	v_mfma_f32_16x16x32_fp8_fp8 v[64:67], a[108:109], v[220:221], v[64:67]// 000000004510: D3F30040 0D03B96C
	v_mfma_f32_16x16x32_fp8_fp8 v[64:67], a[110:111], v[222:223], v[64:67]// 000000004518: D3F30040 0D03BD6E
	v_mfma_f32_16x16x32_fp8_fp8 v[68:71], a[96:97], v[224:225], v[68:71]// 000000004520: D3F30044 0D13C160
	v_mfma_f32_16x16x32_fp8_fp8 v[68:71], a[98:99], v[226:227], v[68:71]// 000000004528: D3F30044 0D13C562
	buffer_load_dwordx4 a[8:11], v34, s[24:27], 0 offen offset:2048// 000000004530: E05C1800 80860822
	v_mfma_f32_16x16x32_fp8_fp8 v[68:71], a[100:101], v[228:229], v[68:71]// 000000004538: D3F30044 0D13C964
	v_mfma_f32_16x16x32_fp8_fp8 v[68:71], a[102:103], v[230:231], v[68:71]// 000000004540: D3F30044 0D13CD66
	v_mfma_f32_16x16x32_fp8_fp8 v[68:71], a[104:105], v[232:233], v[68:71]// 000000004548: D3F30044 0D13D168
	v_mfma_f32_16x16x32_fp8_fp8 v[68:71], a[106:107], v[234:235], v[68:71]// 000000004550: D3F30044 0D13D56A
	buffer_load_dwordx4 a[12:15], v34, s[24:27], 0 offen offset:3072// 000000004558: E05C1C00 80860C22
	v_mfma_f32_16x16x32_fp8_fp8 v[68:71], a[108:109], v[236:237], v[68:71]// 000000004560: D3F30044 0D13D96C
	v_mfma_f32_16x16x32_fp8_fp8 v[68:71], a[110:111], v[238:239], v[68:71]// 000000004568: D3F30044 0D13DD6E
	v_mfma_f32_16x16x32_fp8_fp8 v[72:75], a[112:113], v[208:209], v[72:75]// 000000004570: D3F30048 0D23A170
	v_mfma_f32_16x16x32_fp8_fp8 v[72:75], a[114:115], v[210:211], v[72:75]// 000000004578: D3F30048 0D23A572
	buffer_load_dwordx4 a[16:19], v35, s[24:27], 0 offen       // 000000004580: E05C1000 80861023
	v_mfma_f32_16x16x32_fp8_fp8 v[72:75], a[116:117], v[212:213], v[72:75]// 000000004588: D3F30048 0D23A974
	v_mfma_f32_16x16x32_fp8_fp8 v[72:75], a[118:119], v[214:215], v[72:75]// 000000004590: D3F30048 0D23AD76
	v_mfma_f32_16x16x32_fp8_fp8 v[72:75], a[120:121], v[216:217], v[72:75]// 000000004598: D3F30048 0D23B178
	v_mfma_f32_16x16x32_fp8_fp8 v[72:75], a[122:123], v[218:219], v[72:75]// 0000000045A0: D3F30048 0D23B57A
	buffer_load_dwordx4 a[20:23], v35, s[24:27], 0 offen offset:1024// 0000000045A8: E05C1400 80861423
	v_mfma_f32_16x16x32_fp8_fp8 v[72:75], a[124:125], v[220:221], v[72:75]// 0000000045B0: D3F30048 0D23B97C
	v_mfma_f32_16x16x32_fp8_fp8 v[72:75], a[126:127], v[222:223], v[72:75]// 0000000045B8: D3F30048 0D23BD7E
	v_mfma_f32_16x16x32_fp8_fp8 v[76:79], a[112:113], v[224:225], v[76:79]// 0000000045C0: D3F3004C 0D33C170
	v_mfma_f32_16x16x32_fp8_fp8 v[76:79], a[114:115], v[226:227], v[76:79]// 0000000045C8: D3F3004C 0D33C572
	buffer_load_dwordx4 a[24:27], v35, s[24:27], 0 offen offset:2048// 0000000045D0: E05C1800 80861823
	v_mfma_f32_16x16x32_fp8_fp8 v[76:79], a[116:117], v[228:229], v[76:79]// 0000000045D8: D3F3004C 0D33C974
	v_mfma_f32_16x16x32_fp8_fp8 v[76:79], a[118:119], v[230:231], v[76:79]// 0000000045E0: D3F3004C 0D33CD76
	v_mfma_f32_16x16x32_fp8_fp8 v[76:79], a[120:121], v[232:233], v[76:79]// 0000000045E8: D3F3004C 0D33D178
	v_mfma_f32_16x16x32_fp8_fp8 v[76:79], a[122:123], v[234:235], v[76:79]// 0000000045F0: D3F3004C 0D33D57A
	buffer_load_dwordx4 a[28:31], v35, s[24:27], 0 offen offset:3072// 0000000045F8: E05C1C00 80861C23
	v_mfma_f32_16x16x32_fp8_fp8 v[76:79], a[124:125], v[236:237], v[76:79]// 000000004600: D3F3004C 0D33D97C
	v_mfma_f32_16x16x32_fp8_fp8 v[76:79], a[126:127], v[238:239], v[76:79]// 000000004608: D3F3004C 0D33DD7E
	s_waitcnt vmcnt(20)                                        // 000000004610: BF8C4F74
	v_mfma_f32_16x16x32_fp8_fp8 v[80:83], a[128:129], v[208:209], v[80:83]// 000000004614: D3F30050 0D43A180
	v_mfma_f32_16x16x32_fp8_fp8 v[80:83], a[130:131], v[210:211], v[80:83]// 00000000461C: D3F30050 0D43A582
	buffer_load_dwordx4 a[32:35], v36, s[24:27], 0 offen       // 000000004624: E05C1000 80862024
	v_mfma_f32_16x16x32_fp8_fp8 v[80:83], a[132:133], v[212:213], v[80:83]// 00000000462C: D3F30050 0D43A984
	v_mfma_f32_16x16x32_fp8_fp8 v[80:83], a[134:135], v[214:215], v[80:83]// 000000004634: D3F30050 0D43AD86
	ds_read_b128 v[176:179], v2                                // 00000000463C: D9FE0000 B0000002
	v_mfma_f32_16x16x32_fp8_fp8 v[80:83], a[136:137], v[216:217], v[80:83]// 000000004644: D3F30050 0D43B188
	v_mfma_f32_16x16x32_fp8_fp8 v[80:83], a[138:139], v[218:219], v[80:83]// 00000000464C: D3F30050 0D43B58A
	buffer_load_dwordx4 a[36:39], v36, s[24:27], 0 offen offset:1024// 000000004654: E05C1400 80862424
	v_mfma_f32_16x16x32_fp8_fp8 v[80:83], a[140:141], v[220:221], v[80:83]// 00000000465C: D3F30050 0D43B98C
	v_mfma_f32_16x16x32_fp8_fp8 v[80:83], a[142:143], v[222:223], v[80:83]// 000000004664: D3F30050 0D43BD8E
	ds_read_b128 v[180:183], v2 offset:64                      // 00000000466C: D9FE0040 B4000002
	v_mfma_f32_16x16x32_fp8_fp8 v[84:87], a[128:129], v[224:225], v[84:87]// 000000004674: D3F30054 0D53C180
	v_mfma_f32_16x16x32_fp8_fp8 v[84:87], a[130:131], v[226:227], v[84:87]// 00000000467C: D3F30054 0D53C582
	buffer_load_dwordx4 a[40:43], v36, s[24:27], 0 offen offset:2048// 000000004684: E05C1800 80862824
	v_mfma_f32_16x16x32_fp8_fp8 v[84:87], a[132:133], v[228:229], v[84:87]// 00000000468C: D3F30054 0D53C984
	v_mfma_f32_16x16x32_fp8_fp8 v[84:87], a[134:135], v[230:231], v[84:87]// 000000004694: D3F30054 0D53CD86
	ds_read_b128 v[184:187], v2 offset:128                     // 00000000469C: D9FE0080 B8000002
	v_mfma_f32_16x16x32_fp8_fp8 v[84:87], a[136:137], v[232:233], v[84:87]// 0000000046A4: D3F30054 0D53D188
	v_mfma_f32_16x16x32_fp8_fp8 v[84:87], a[138:139], v[234:235], v[84:87]// 0000000046AC: D3F30054 0D53D58A
	buffer_load_dwordx4 a[44:47], v36, s[24:27], 0 offen offset:3072// 0000000046B4: E05C1C00 80862C24
	v_mfma_f32_16x16x32_fp8_fp8 v[84:87], a[140:141], v[236:237], v[84:87]// 0000000046BC: D3F30054 0D53D98C
	v_mfma_f32_16x16x32_fp8_fp8 v[84:87], a[142:143], v[238:239], v[84:87]// 0000000046C4: D3F30054 0D53DD8E
	ds_read_b128 v[188:191], v2 offset:192                     // 0000000046CC: D9FE00C0 BC000002
	s_waitcnt vmcnt(20)                                        // 0000000046D4: BF8C4F74
	v_mfma_f32_16x16x32_fp8_fp8 v[88:91], a[144:145], v[208:209], v[88:91]// 0000000046D8: D3F30058 0D63A190
	v_mfma_f32_16x16x32_fp8_fp8 v[88:91], a[146:147], v[210:211], v[88:91]// 0000000046E0: D3F30058 0D63A592
	buffer_load_dwordx4 a[48:51], v37, s[24:27], 0 offen       // 0000000046E8: E05C1000 80863025
	v_mfma_f32_16x16x32_fp8_fp8 v[88:91], a[148:149], v[212:213], v[88:91]// 0000000046F0: D3F30058 0D63A994
	v_mfma_f32_16x16x32_fp8_fp8 v[88:91], a[150:151], v[214:215], v[88:91]// 0000000046F8: D3F30058 0D63AD96
	ds_read_b128 v[192:195], v2 offset:1024                    // 000000004700: D9FE0400 C0000002
	v_mfma_f32_16x16x32_fp8_fp8 v[88:91], a[152:153], v[216:217], v[88:91]// 000000004708: D3F30058 0D63B198
	v_mfma_f32_16x16x32_fp8_fp8 v[88:91], a[154:155], v[218:219], v[88:91]// 000000004710: D3F30058 0D63B59A
	buffer_load_dwordx4 a[52:55], v37, s[24:27], 0 offen offset:1024// 000000004718: E05C1400 80863425
	v_mfma_f32_16x16x32_fp8_fp8 v[88:91], a[156:157], v[220:221], v[88:91]// 000000004720: D3F30058 0D63B99C
	v_mfma_f32_16x16x32_fp8_fp8 v[88:91], a[158:159], v[222:223], v[88:91]// 000000004728: D3F30058 0D63BD9E
	ds_read_b128 v[196:199], v2 offset:1088                    // 000000004730: D9FE0440 C4000002
	v_mfma_f32_16x16x32_fp8_fp8 v[92:95], a[144:145], v[224:225], v[92:95]// 000000004738: D3F3005C 0D73C190
	v_mfma_f32_16x16x32_fp8_fp8 v[92:95], a[146:147], v[226:227], v[92:95]// 000000004740: D3F3005C 0D73C592
	buffer_load_dwordx4 a[56:59], v37, s[24:27], 0 offen offset:2048// 000000004748: E05C1800 80863825
	v_mfma_f32_16x16x32_fp8_fp8 v[92:95], a[148:149], v[228:229], v[92:95]// 000000004750: D3F3005C 0D73C994
	v_mfma_f32_16x16x32_fp8_fp8 v[92:95], a[150:151], v[230:231], v[92:95]// 000000004758: D3F3005C 0D73CD96
	ds_read_b128 v[200:203], v2 offset:1152                    // 000000004760: D9FE0480 C8000002
	v_mfma_f32_16x16x32_fp8_fp8 v[92:95], a[152:153], v[232:233], v[92:95]// 000000004768: D3F3005C 0D73D198
	v_mfma_f32_16x16x32_fp8_fp8 v[92:95], a[154:155], v[234:235], v[92:95]// 000000004770: D3F3005C 0D73D59A
	buffer_load_dwordx4 a[60:63], v37, s[24:27], 0 offen offset:3072// 000000004778: E05C1C00 80863C25
	v_mfma_f32_16x16x32_fp8_fp8 v[92:95], a[156:157], v[236:237], v[92:95]// 000000004780: D3F3005C 0D73D99C
	v_mfma_f32_16x16x32_fp8_fp8 v[92:95], a[158:159], v[238:239], v[92:95]// 000000004788: D3F3005C 0D73DD9E
	ds_read_b128 v[204:207], v2 offset:1216                    // 000000004790: D9FE04C0 CC000002
	s_waitcnt vmcnt(20)                                        // 000000004798: BF8C4F74
	v_mfma_f32_16x16x32_fp8_fp8 v[96:99], a[160:161], v[208:209], v[96:99]// 00000000479C: D3F30060 0D83A1A0
	v_mfma_f32_16x16x32_fp8_fp8 v[96:99], a[162:163], v[210:211], v[96:99]// 0000000047A4: D3F30060 0D83A5A2
	buffer_load_dwordx4 a[64:67], v38, s[24:27], 0 offen       // 0000000047AC: E05C1000 80864026
	v_mfma_f32_16x16x32_fp8_fp8 v[96:99], a[164:165], v[212:213], v[96:99]// 0000000047B4: D3F30060 0D83A9A4
	v_mfma_f32_16x16x32_fp8_fp8 v[96:99], a[166:167], v[214:215], v[96:99]// 0000000047BC: D3F30060 0D83ADA6
	v_mfma_f32_16x16x32_fp8_fp8 v[96:99], a[168:169], v[216:217], v[96:99]// 0000000047C4: D3F30060 0D83B1A8
	v_mfma_f32_16x16x32_fp8_fp8 v[96:99], a[170:171], v[218:219], v[96:99]// 0000000047CC: D3F30060 0D83B5AA
	buffer_load_dwordx4 a[68:71], v38, s[24:27], 0 offen offset:1024// 0000000047D4: E05C1400 80864426
	v_mfma_f32_16x16x32_fp8_fp8 v[96:99], a[172:173], v[220:221], v[96:99]// 0000000047DC: D3F30060 0D83B9AC
	v_mfma_f32_16x16x32_fp8_fp8 v[96:99], a[174:175], v[222:223], v[96:99]// 0000000047E4: D3F30060 0D83BDAE
	v_mfma_f32_16x16x32_fp8_fp8 v[100:103], a[160:161], v[224:225], v[100:103]// 0000000047EC: D3F30064 0D93C1A0
	v_mfma_f32_16x16x32_fp8_fp8 v[100:103], a[162:163], v[226:227], v[100:103]// 0000000047F4: D3F30064 0D93C5A2
	buffer_load_dwordx4 a[72:75], v38, s[24:27], 0 offen offset:2048// 0000000047FC: E05C1800 80864826
	v_mfma_f32_16x16x32_fp8_fp8 v[100:103], a[164:165], v[228:229], v[100:103]// 000000004804: D3F30064 0D93C9A4
	v_mfma_f32_16x16x32_fp8_fp8 v[100:103], a[166:167], v[230:231], v[100:103]// 00000000480C: D3F30064 0D93CDA6
	v_mfma_f32_16x16x32_fp8_fp8 v[100:103], a[168:169], v[232:233], v[100:103]// 000000004814: D3F30064 0D93D1A8
	v_mfma_f32_16x16x32_fp8_fp8 v[100:103], a[170:171], v[234:235], v[100:103]// 00000000481C: D3F30064 0D93D5AA
	buffer_load_dwordx4 a[76:79], v38, s[24:27], 0 offen offset:3072// 000000004824: E05C1C00 80864C26
	v_mfma_f32_16x16x32_fp8_fp8 v[100:103], a[172:173], v[236:237], v[100:103]// 00000000482C: D3F30064 0D93D9AC
	v_mfma_f32_16x16x32_fp8_fp8 v[100:103], a[174:175], v[238:239], v[100:103]// 000000004834: D3F30064 0D93DDAE
	s_waitcnt vmcnt(20)                                        // 00000000483C: BF8C4F74
	v_mfma_f32_16x16x32_fp8_fp8 v[104:107], a[176:177], v[208:209], v[104:107]// 000000004840: D3F30068 0DA3A1B0
	v_mfma_f32_16x16x32_fp8_fp8 v[104:107], a[178:179], v[210:211], v[104:107]// 000000004848: D3F30068 0DA3A5B2
	buffer_load_dwordx4 a[80:83], v39, s[24:27], 0 offen       // 000000004850: E05C1000 80865027
	v_mfma_f32_16x16x32_fp8_fp8 v[104:107], a[180:181], v[212:213], v[104:107]// 000000004858: D3F30068 0DA3A9B4
	v_mfma_f32_16x16x32_fp8_fp8 v[104:107], a[182:183], v[214:215], v[104:107]// 000000004860: D3F30068 0DA3ADB6
	v_mfma_f32_16x16x32_fp8_fp8 v[104:107], a[184:185], v[216:217], v[104:107]// 000000004868: D3F30068 0DA3B1B8
	v_mfma_f32_16x16x32_fp8_fp8 v[104:107], a[186:187], v[218:219], v[104:107]// 000000004870: D3F30068 0DA3B5BA
	buffer_load_dwordx4 a[84:87], v39, s[24:27], 0 offen offset:1024// 000000004878: E05C1400 80865427
	v_mfma_f32_16x16x32_fp8_fp8 v[104:107], a[188:189], v[220:221], v[104:107]// 000000004880: D3F30068 0DA3B9BC
	v_mfma_f32_16x16x32_fp8_fp8 v[104:107], a[190:191], v[222:223], v[104:107]// 000000004888: D3F30068 0DA3BDBE
	v_mfma_f32_16x16x32_fp8_fp8 v[108:111], a[176:177], v[224:225], v[108:111]// 000000004890: D3F3006C 0DB3C1B0
	v_mfma_f32_16x16x32_fp8_fp8 v[108:111], a[178:179], v[226:227], v[108:111]// 000000004898: D3F3006C 0DB3C5B2
	buffer_load_dwordx4 a[88:91], v39, s[24:27], 0 offen offset:2048// 0000000048A0: E05C1800 80865827
	v_mfma_f32_16x16x32_fp8_fp8 v[108:111], a[180:181], v[228:229], v[108:111]// 0000000048A8: D3F3006C 0DB3C9B4
	v_mfma_f32_16x16x32_fp8_fp8 v[108:111], a[182:183], v[230:231], v[108:111]// 0000000048B0: D3F3006C 0DB3CDB6
	v_mfma_f32_16x16x32_fp8_fp8 v[108:111], a[184:185], v[232:233], v[108:111]// 0000000048B8: D3F3006C 0DB3D1B8
	v_mfma_f32_16x16x32_fp8_fp8 v[108:111], a[186:187], v[234:235], v[108:111]// 0000000048C0: D3F3006C 0DB3D5BA
	buffer_load_dwordx4 a[92:95], v39, s[24:27], 0 offen offset:3072// 0000000048C8: E05C1C00 80865C27
	v_mfma_f32_16x16x32_fp8_fp8 v[108:111], a[188:189], v[236:237], v[108:111]// 0000000048D0: D3F3006C 0DB3D9BC
	v_mfma_f32_16x16x32_fp8_fp8 v[108:111], a[190:191], v[238:239], v[108:111]// 0000000048D8: D3F3006C 0DB3DDBE
	s_add_u32 s60, 0x200, s80                                  // 0000000048E0: 803C50FF 00000200
	s_cmp_lt_u32 s60, s81                                      // 0000000048E8: BF0A513C
	s_cselect_b32 s57, s57, 0                                  // 0000000048EC: 85398039
	s_add_u32 s60, 0x200, s80                                  // 0000000048F0: 803C50FF 00000200
	s_cmp_lt_u32 s60, s81                                      // 0000000048F8: BF0A513C
	s_cselect_b32 s58, s58, 0                                  // 0000000048FC: 853A803A
	s_add_u32 s20, s57, s20                                    // 000000004900: 80141439
	s_addc_u32 s21, 0, s21                                     // 000000004904: 82151580
	s_add_u32 s24, s58, s24                                    // 000000004908: 8018183A
	s_addc_u32 s25, 0, s25                                     // 00000000490C: 82191980
	s_add_u32 s92, s90, s92                                    // 000000004910: 805C5C5A
	s_addc_u32 s93, 0, s93                                     // 000000004914: 825D5D80
	s_addk_i32 s80, 0x100                                      // 000000004918: B7500100
	s_cmp_lt_i32 s80, s81                                      // 00000000491C: BF045150
	s_cbranch_scc0 label_06CA                                  // 000000004920: BF840001
	s_branch label_0271                                        // 000000004924: BF82FBA7

0000000000004928 <label_06CA>:
	s_mov_b32 s20, 0                                           // 000000004928: BE940080
	s_cmp_lt_u32 s89, s66                                      // 00000000492C: BF0A4259
	s_cselect_b32 s60, 0, 1                                    // 000000004930: 853C8180
	s_lshl1_add_u32 s20, s20, s60                              // 000000004934: 97143C14
	s_cmp_lt_u32 s88, s66                                      // 000000004938: BF0A4258
	s_cselect_b32 s60, 0, 1                                    // 00000000493C: 853C8180
	s_lshl1_add_u32 s20, s20, s60                              // 000000004940: 97143C14
	s_cmp_lt_u32 s87, s66                                      // 000000004944: BF0A4257
	s_cselect_b32 s60, 0, 1                                    // 000000004948: 853C8180
	s_lshl1_add_u32 s20, s20, s60                              // 00000000494C: 97143C14
	s_cmp_lt_u32 s86, s66                                      // 000000004950: BF0A4256
	s_cselect_b32 s60, 0, 1                                    // 000000004954: 853C8180
	s_lshl1_add_u32 s20, s20, s60                              // 000000004958: 97143C14
	s_cmp_lt_u32 s85, s66                                      // 00000000495C: BF0A4255
	s_cselect_b32 s60, 0, 1                                    // 000000004960: 853C8180
	s_lshl1_add_u32 s20, s20, s60                              // 000000004964: 97143C14
	s_cmp_lt_u32 s84, s66                                      // 000000004968: BF0A4254
	s_cselect_b32 s60, 0, 1                                    // 00000000496C: 853C8180
	s_lshl1_add_u32 s20, s20, s60                              // 000000004970: 97143C14
	s_cmp_lt_u32 s83, s66                                      // 000000004974: BF0A4253
	s_cselect_b32 s60, 0, 1                                    // 000000004978: 853C8180
	s_lshl1_add_u32 s20, s20, s60                              // 00000000497C: 97143C14
	s_cmp_lt_u32 s82, s66                                      // 000000004980: BF0A4252
	s_cselect_b32 s60, 0, 1                                    // 000000004984: 853C8180
	s_lshl1_add_u32 s20, s20, s60                              // 000000004988: 97143C14
	v_mul_f32_e32 v128, v14, v128                              // 00000000498C: 0B01010E
	v_mul_f32_e32 v129, v14, v129                              // 000000004990: 0B03030E
	v_mul_f32_e32 v130, v14, v130                              // 000000004994: 0B05050E
	v_mul_f32_e32 v131, v14, v131                              // 000000004998: 0B07070E
	v_mul_f32_dpp v128, v16, v128 row_newbcast:0 row_mask:0xf bank_mask:0xf// 00000000499C: 0B0100FA FF015010
	v_mul_f32_dpp v129, v16, v129 row_newbcast:1 row_mask:0xf bank_mask:0xf// 0000000049A4: 0B0302FA FF015110
	v_mul_f32_dpp v130, v16, v130 row_newbcast:2 row_mask:0xf bank_mask:0xf// 0000000049AC: 0B0504FA FF015210
	v_mul_f32_dpp v131, v16, v131 row_newbcast:3 row_mask:0xf bank_mask:0xf// 0000000049B4: 0B0706FA FF015310
	v_mul_f32_e32 v132, v15, v132                              // 0000000049BC: 0B09090F
	v_mul_f32_e32 v133, v15, v133                              // 0000000049C0: 0B0B0B0F
	v_mul_f32_e32 v134, v15, v134                              // 0000000049C4: 0B0D0D0F
	v_mul_f32_e32 v135, v15, v135                              // 0000000049C8: 0B0F0F0F
	v_mul_f32_dpp v132, v16, v132 row_newbcast:0 row_mask:0xf bank_mask:0xf// 0000000049CC: 0B0908FA FF015010
	v_mul_f32_dpp v133, v16, v133 row_newbcast:1 row_mask:0xf bank_mask:0xf// 0000000049D4: 0B0B0AFA FF015110
	v_mul_f32_dpp v134, v16, v134 row_newbcast:2 row_mask:0xf bank_mask:0xf// 0000000049DC: 0B0D0CFA FF015210
	v_mul_f32_dpp v135, v16, v135 row_newbcast:3 row_mask:0xf bank_mask:0xf// 0000000049E4: 0B0F0EFA FF015310
	v_mul_f32_e32 v136, v14, v136                              // 0000000049EC: 0B11110E
	v_mul_f32_e32 v137, v14, v137                              // 0000000049F0: 0B13130E
	v_mul_f32_e32 v138, v14, v138                              // 0000000049F4: 0B15150E
	v_mul_f32_e32 v139, v14, v139                              // 0000000049F8: 0B17170E
	v_mul_f32_dpp v136, v16, v136 row_newbcast:4 row_mask:0xf bank_mask:0xf// 0000000049FC: 0B1110FA FF015410
	v_mul_f32_dpp v137, v16, v137 row_newbcast:5 row_mask:0xf bank_mask:0xf// 000000004A04: 0B1312FA FF015510
	v_mul_f32_dpp v138, v16, v138 row_newbcast:6 row_mask:0xf bank_mask:0xf// 000000004A0C: 0B1514FA FF015610
	v_mul_f32_dpp v139, v16, v139 row_newbcast:7 row_mask:0xf bank_mask:0xf// 000000004A14: 0B1716FA FF015710
	v_mul_f32_e32 v140, v15, v140                              // 000000004A1C: 0B19190F
	v_mul_f32_e32 v141, v15, v141                              // 000000004A20: 0B1B1B0F
	v_mul_f32_e32 v142, v15, v142                              // 000000004A24: 0B1D1D0F
	v_mul_f32_e32 v143, v15, v143                              // 000000004A28: 0B1F1F0F
	v_mul_f32_dpp v140, v16, v140 row_newbcast:4 row_mask:0xf bank_mask:0xf// 000000004A2C: 0B1918FA FF015410
	v_mul_f32_dpp v141, v16, v141 row_newbcast:5 row_mask:0xf bank_mask:0xf// 000000004A34: 0B1B1AFA FF015510
	v_mul_f32_dpp v142, v16, v142 row_newbcast:6 row_mask:0xf bank_mask:0xf// 000000004A3C: 0B1D1CFA FF015610
	v_mul_f32_dpp v143, v16, v143 row_newbcast:7 row_mask:0xf bank_mask:0xf// 000000004A44: 0B1F1EFA FF015710
	v_mul_f32_e32 v144, v14, v144                              // 000000004A4C: 0B21210E
	v_mul_f32_e32 v145, v14, v145                              // 000000004A50: 0B23230E
	v_mul_f32_e32 v146, v14, v146                              // 000000004A54: 0B25250E
	v_mul_f32_e32 v147, v14, v147                              // 000000004A58: 0B27270E
	v_mul_f32_dpp v144, v16, v144 row_newbcast:8 row_mask:0xf bank_mask:0xf// 000000004A5C: 0B2120FA FF015810
	v_mul_f32_dpp v145, v16, v145 row_newbcast:9 row_mask:0xf bank_mask:0xf// 000000004A64: 0B2322FA FF015910
	v_mul_f32_dpp v146, v16, v146 row_newbcast:10 row_mask:0xf bank_mask:0xf// 000000004A6C: 0B2524FA FF015A10
	v_mul_f32_dpp v147, v16, v147 row_newbcast:11 row_mask:0xf bank_mask:0xf// 000000004A74: 0B2726FA FF015B10
	v_mul_f32_e32 v148, v15, v148                              // 000000004A7C: 0B29290F
	v_mul_f32_e32 v149, v15, v149                              // 000000004A80: 0B2B2B0F
	v_mul_f32_e32 v150, v15, v150                              // 000000004A84: 0B2D2D0F
	v_mul_f32_e32 v151, v15, v151                              // 000000004A88: 0B2F2F0F
	v_mul_f32_dpp v148, v16, v148 row_newbcast:8 row_mask:0xf bank_mask:0xf// 000000004A8C: 0B2928FA FF015810
	v_mul_f32_dpp v149, v16, v149 row_newbcast:9 row_mask:0xf bank_mask:0xf// 000000004A94: 0B2B2AFA FF015910
	v_mul_f32_dpp v150, v16, v150 row_newbcast:10 row_mask:0xf bank_mask:0xf// 000000004A9C: 0B2D2CFA FF015A10
	v_mul_f32_dpp v151, v16, v151 row_newbcast:11 row_mask:0xf bank_mask:0xf// 000000004AA4: 0B2F2EFA FF015B10
	v_mul_f32_e32 v152, v14, v152                              // 000000004AAC: 0B31310E
	v_mul_f32_e32 v153, v14, v153                              // 000000004AB0: 0B33330E
	v_mul_f32_e32 v154, v14, v154                              // 000000004AB4: 0B35350E
	v_mul_f32_e32 v155, v14, v155                              // 000000004AB8: 0B37370E
	v_mul_f32_dpp v152, v16, v152 row_newbcast:12 row_mask:0xf bank_mask:0xf// 000000004ABC: 0B3130FA FF015C10
	v_mul_f32_dpp v153, v16, v153 row_newbcast:13 row_mask:0xf bank_mask:0xf// 000000004AC4: 0B3332FA FF015D10
	v_mul_f32_dpp v154, v16, v154 row_newbcast:14 row_mask:0xf bank_mask:0xf// 000000004ACC: 0B3534FA FF015E10
	v_mul_f32_dpp v155, v16, v155 row_newbcast:15 row_mask:0xf bank_mask:0xf// 000000004AD4: 0B3736FA FF015F10
	v_mul_f32_e32 v156, v15, v156                              // 000000004ADC: 0B39390F
	v_mul_f32_e32 v157, v15, v157                              // 000000004AE0: 0B3B3B0F
	v_mul_f32_e32 v158, v15, v158                              // 000000004AE4: 0B3D3D0F
	v_mul_f32_e32 v159, v15, v159                              // 000000004AE8: 0B3F3F0F
	v_mul_f32_dpp v156, v16, v156 row_newbcast:12 row_mask:0xf bank_mask:0xf// 000000004AEC: 0B3938FA FF015C10
	v_mul_f32_dpp v157, v16, v157 row_newbcast:13 row_mask:0xf bank_mask:0xf// 000000004AF4: 0B3B3AFA FF015D10
	v_mul_f32_dpp v158, v16, v158 row_newbcast:14 row_mask:0xf bank_mask:0xf// 000000004AFC: 0B3D3CFA FF015E10
	v_mul_f32_dpp v159, v16, v159 row_newbcast:15 row_mask:0xf bank_mask:0xf// 000000004B04: 0B3F3EFA FF015F10
	v_mul_f32_e32 v160, v14, v160                              // 000000004B0C: 0B41410E
	v_mul_f32_e32 v161, v14, v161                              // 000000004B10: 0B43430E
	v_mul_f32_e32 v162, v14, v162                              // 000000004B14: 0B45450E
	v_mul_f32_e32 v163, v14, v163                              // 000000004B18: 0B47470E
	v_mul_f32_dpp v160, v17, v160 row_newbcast:0 row_mask:0xf bank_mask:0xf// 000000004B1C: 0B4140FA FF015011
	v_mul_f32_dpp v161, v17, v161 row_newbcast:1 row_mask:0xf bank_mask:0xf// 000000004B24: 0B4342FA FF015111
	v_mul_f32_dpp v162, v17, v162 row_newbcast:2 row_mask:0xf bank_mask:0xf// 000000004B2C: 0B4544FA FF015211
	v_mul_f32_dpp v163, v17, v163 row_newbcast:3 row_mask:0xf bank_mask:0xf// 000000004B34: 0B4746FA FF015311
	v_mul_f32_e32 v164, v15, v164                              // 000000004B3C: 0B49490F
	v_mul_f32_e32 v165, v15, v165                              // 000000004B40: 0B4B4B0F
	v_mul_f32_e32 v166, v15, v166                              // 000000004B44: 0B4D4D0F
	v_mul_f32_e32 v167, v15, v167                              // 000000004B48: 0B4F4F0F
	v_mul_f32_dpp v164, v17, v164 row_newbcast:0 row_mask:0xf bank_mask:0xf// 000000004B4C: 0B4948FA FF015011
	v_mul_f32_dpp v165, v17, v165 row_newbcast:1 row_mask:0xf bank_mask:0xf// 000000004B54: 0B4B4AFA FF015111
	v_mul_f32_dpp v166, v17, v166 row_newbcast:2 row_mask:0xf bank_mask:0xf// 000000004B5C: 0B4D4CFA FF015211
	v_mul_f32_dpp v167, v17, v167 row_newbcast:3 row_mask:0xf bank_mask:0xf// 000000004B64: 0B4F4EFA FF015311
	v_mul_f32_e32 v168, v14, v168                              // 000000004B6C: 0B51510E
	v_mul_f32_e32 v169, v14, v169                              // 000000004B70: 0B53530E
	v_mul_f32_e32 v170, v14, v170                              // 000000004B74: 0B55550E
	v_mul_f32_e32 v171, v14, v171                              // 000000004B78: 0B57570E
	v_mul_f32_dpp v168, v17, v168 row_newbcast:4 row_mask:0xf bank_mask:0xf// 000000004B7C: 0B5150FA FF015411
	v_mul_f32_dpp v169, v17, v169 row_newbcast:5 row_mask:0xf bank_mask:0xf// 000000004B84: 0B5352FA FF015511
	v_mul_f32_dpp v170, v17, v170 row_newbcast:6 row_mask:0xf bank_mask:0xf// 000000004B8C: 0B5554FA FF015611
	v_mul_f32_dpp v171, v17, v171 row_newbcast:7 row_mask:0xf bank_mask:0xf// 000000004B94: 0B5756FA FF015711
	v_mul_f32_e32 v172, v15, v172                              // 000000004B9C: 0B59590F
	v_mul_f32_e32 v173, v15, v173                              // 000000004BA0: 0B5B5B0F
	v_mul_f32_e32 v174, v15, v174                              // 000000004BA4: 0B5D5D0F
	v_mul_f32_e32 v175, v15, v175                              // 000000004BA8: 0B5F5F0F
	v_mul_f32_dpp v172, v17, v172 row_newbcast:4 row_mask:0xf bank_mask:0xf// 000000004BAC: 0B5958FA FF015411
	v_mul_f32_dpp v173, v17, v173 row_newbcast:5 row_mask:0xf bank_mask:0xf// 000000004BB4: 0B5B5AFA FF015511
	v_mul_f32_dpp v174, v17, v174 row_newbcast:6 row_mask:0xf bank_mask:0xf// 000000004BBC: 0B5D5CFA FF015611
	v_mul_f32_dpp v175, v17, v175 row_newbcast:7 row_mask:0xf bank_mask:0xf// 000000004BC4: 0B5F5EFA FF015711
	v_mul_f32_e32 v64, v14, v64                                // 000000004BCC: 0A80810E
	v_mul_f32_e32 v65, v14, v65                                // 000000004BD0: 0A82830E
	v_mul_f32_e32 v66, v14, v66                                // 000000004BD4: 0A84850E
	v_mul_f32_e32 v67, v14, v67                                // 000000004BD8: 0A86870E
	v_mul_f32_dpp v64, v48, v64 row_newbcast:0 row_mask:0xf bank_mask:0xf// 000000004BDC: 0A8080FA FF015030
	v_mul_f32_dpp v65, v48, v65 row_newbcast:1 row_mask:0xf bank_mask:0xf// 000000004BE4: 0A8282FA FF015130
	v_mul_f32_dpp v66, v48, v66 row_newbcast:2 row_mask:0xf bank_mask:0xf// 000000004BEC: 0A8484FA FF015230
	v_mul_f32_dpp v67, v48, v67 row_newbcast:3 row_mask:0xf bank_mask:0xf// 000000004BF4: 0A8686FA FF015330
	v_mul_f32_e32 v68, v15, v68                                // 000000004BFC: 0A88890F
	v_mul_f32_e32 v69, v15, v69                                // 000000004C00: 0A8A8B0F
	v_mul_f32_e32 v70, v15, v70                                // 000000004C04: 0A8C8D0F
	v_mul_f32_e32 v71, v15, v71                                // 000000004C08: 0A8E8F0F
	v_mul_f32_dpp v68, v48, v68 row_newbcast:0 row_mask:0xf bank_mask:0xf// 000000004C0C: 0A8888FA FF015030
	v_mul_f32_dpp v69, v48, v69 row_newbcast:1 row_mask:0xf bank_mask:0xf// 000000004C14: 0A8A8AFA FF015130
	v_mul_f32_dpp v70, v48, v70 row_newbcast:2 row_mask:0xf bank_mask:0xf// 000000004C1C: 0A8C8CFA FF015230
	v_mul_f32_dpp v71, v48, v71 row_newbcast:3 row_mask:0xf bank_mask:0xf// 000000004C24: 0A8E8EFA FF015330
	v_mul_f32_e32 v72, v14, v72                                // 000000004C2C: 0A90910E
	v_mul_f32_e32 v73, v14, v73                                // 000000004C30: 0A92930E
	v_mul_f32_e32 v74, v14, v74                                // 000000004C34: 0A94950E
	v_mul_f32_e32 v75, v14, v75                                // 000000004C38: 0A96970E
	v_mul_f32_dpp v72, v48, v72 row_newbcast:4 row_mask:0xf bank_mask:0xf// 000000004C3C: 0A9090FA FF015430
	v_mul_f32_dpp v73, v48, v73 row_newbcast:5 row_mask:0xf bank_mask:0xf// 000000004C44: 0A9292FA FF015530
	v_mul_f32_dpp v74, v48, v74 row_newbcast:6 row_mask:0xf bank_mask:0xf// 000000004C4C: 0A9494FA FF015630
	v_mul_f32_dpp v75, v48, v75 row_newbcast:7 row_mask:0xf bank_mask:0xf// 000000004C54: 0A9696FA FF015730
	v_mul_f32_e32 v76, v15, v76                                // 000000004C5C: 0A98990F
	v_mul_f32_e32 v77, v15, v77                                // 000000004C60: 0A9A9B0F
	v_mul_f32_e32 v78, v15, v78                                // 000000004C64: 0A9C9D0F
	v_mul_f32_e32 v79, v15, v79                                // 000000004C68: 0A9E9F0F
	v_mul_f32_dpp v76, v48, v76 row_newbcast:4 row_mask:0xf bank_mask:0xf// 000000004C6C: 0A9898FA FF015430
	v_mul_f32_dpp v77, v48, v77 row_newbcast:5 row_mask:0xf bank_mask:0xf// 000000004C74: 0A9A9AFA FF015530
	v_mul_f32_dpp v78, v48, v78 row_newbcast:6 row_mask:0xf bank_mask:0xf// 000000004C7C: 0A9C9CFA FF015630
	v_mul_f32_dpp v79, v48, v79 row_newbcast:7 row_mask:0xf bank_mask:0xf// 000000004C84: 0A9E9EFA FF015730
	v_mul_f32_e32 v80, v14, v80                                // 000000004C8C: 0AA0A10E
	v_mul_f32_e32 v81, v14, v81                                // 000000004C90: 0AA2A30E
	v_mul_f32_e32 v82, v14, v82                                // 000000004C94: 0AA4A50E
	v_mul_f32_e32 v83, v14, v83                                // 000000004C98: 0AA6A70E
	v_mul_f32_dpp v80, v48, v80 row_newbcast:8 row_mask:0xf bank_mask:0xf// 000000004C9C: 0AA0A0FA FF015830
	v_mul_f32_dpp v81, v48, v81 row_newbcast:9 row_mask:0xf bank_mask:0xf// 000000004CA4: 0AA2A2FA FF015930
	v_mul_f32_dpp v82, v48, v82 row_newbcast:10 row_mask:0xf bank_mask:0xf// 000000004CAC: 0AA4A4FA FF015A30
	v_mul_f32_dpp v83, v48, v83 row_newbcast:11 row_mask:0xf bank_mask:0xf// 000000004CB4: 0AA6A6FA FF015B30
	v_mul_f32_e32 v84, v15, v84                                // 000000004CBC: 0AA8A90F
	v_mul_f32_e32 v85, v15, v85                                // 000000004CC0: 0AAAAB0F
	v_mul_f32_e32 v86, v15, v86                                // 000000004CC4: 0AACAD0F
	v_mul_f32_e32 v87, v15, v87                                // 000000004CC8: 0AAEAF0F
	v_mul_f32_dpp v84, v48, v84 row_newbcast:8 row_mask:0xf bank_mask:0xf// 000000004CCC: 0AA8A8FA FF015830
	v_mul_f32_dpp v85, v48, v85 row_newbcast:9 row_mask:0xf bank_mask:0xf// 000000004CD4: 0AAAAAFA FF015930
	v_mul_f32_dpp v86, v48, v86 row_newbcast:10 row_mask:0xf bank_mask:0xf// 000000004CDC: 0AACACFA FF015A30
	v_mul_f32_dpp v87, v48, v87 row_newbcast:11 row_mask:0xf bank_mask:0xf// 000000004CE4: 0AAEAEFA FF015B30
	v_mul_f32_e32 v88, v14, v88                                // 000000004CEC: 0AB0B10E
	v_mul_f32_e32 v89, v14, v89                                // 000000004CF0: 0AB2B30E
	v_mul_f32_e32 v90, v14, v90                                // 000000004CF4: 0AB4B50E
	v_mul_f32_e32 v91, v14, v91                                // 000000004CF8: 0AB6B70E
	v_mul_f32_dpp v88, v48, v88 row_newbcast:12 row_mask:0xf bank_mask:0xf// 000000004CFC: 0AB0B0FA FF015C30
	v_mul_f32_dpp v89, v48, v89 row_newbcast:13 row_mask:0xf bank_mask:0xf// 000000004D04: 0AB2B2FA FF015D30
	v_mul_f32_dpp v90, v48, v90 row_newbcast:14 row_mask:0xf bank_mask:0xf// 000000004D0C: 0AB4B4FA FF015E30
	v_mul_f32_dpp v91, v48, v91 row_newbcast:15 row_mask:0xf bank_mask:0xf// 000000004D14: 0AB6B6FA FF015F30
	v_mul_f32_e32 v92, v15, v92                                // 000000004D1C: 0AB8B90F
	v_mul_f32_e32 v93, v15, v93                                // 000000004D20: 0ABABB0F
	v_mul_f32_e32 v94, v15, v94                                // 000000004D24: 0ABCBD0F
	v_mul_f32_e32 v95, v15, v95                                // 000000004D28: 0ABEBF0F
	v_mul_f32_dpp v92, v48, v92 row_newbcast:12 row_mask:0xf bank_mask:0xf// 000000004D2C: 0AB8B8FA FF015C30
	v_mul_f32_dpp v93, v48, v93 row_newbcast:13 row_mask:0xf bank_mask:0xf// 000000004D34: 0ABABAFA FF015D30
	v_mul_f32_dpp v94, v48, v94 row_newbcast:14 row_mask:0xf bank_mask:0xf// 000000004D3C: 0ABCBCFA FF015E30
	v_mul_f32_dpp v95, v48, v95 row_newbcast:15 row_mask:0xf bank_mask:0xf// 000000004D44: 0ABEBEFA FF015F30
	v_mul_f32_e32 v96, v14, v96                                // 000000004D4C: 0AC0C10E
	v_mul_f32_e32 v97, v14, v97                                // 000000004D50: 0AC2C30E
	v_mul_f32_e32 v98, v14, v98                                // 000000004D54: 0AC4C50E
	v_mul_f32_e32 v99, v14, v99                                // 000000004D58: 0AC6C70E
	v_mul_f32_dpp v96, v49, v96 row_newbcast:0 row_mask:0xf bank_mask:0xf// 000000004D5C: 0AC0C0FA FF015031
	v_mul_f32_dpp v97, v49, v97 row_newbcast:1 row_mask:0xf bank_mask:0xf// 000000004D64: 0AC2C2FA FF015131
	v_mul_f32_dpp v98, v49, v98 row_newbcast:2 row_mask:0xf bank_mask:0xf// 000000004D6C: 0AC4C4FA FF015231
	v_mul_f32_dpp v99, v49, v99 row_newbcast:3 row_mask:0xf bank_mask:0xf// 000000004D74: 0AC6C6FA FF015331
	v_mul_f32_e32 v100, v15, v100                              // 000000004D7C: 0AC8C90F
	v_mul_f32_e32 v101, v15, v101                              // 000000004D80: 0ACACB0F
	v_mul_f32_e32 v102, v15, v102                              // 000000004D84: 0ACCCD0F
	v_mul_f32_e32 v103, v15, v103                              // 000000004D88: 0ACECF0F
	v_mul_f32_dpp v100, v49, v100 row_newbcast:0 row_mask:0xf bank_mask:0xf// 000000004D8C: 0AC8C8FA FF015031
	v_mul_f32_dpp v101, v49, v101 row_newbcast:1 row_mask:0xf bank_mask:0xf// 000000004D94: 0ACACAFA FF015131
	v_mul_f32_dpp v102, v49, v102 row_newbcast:2 row_mask:0xf bank_mask:0xf// 000000004D9C: 0ACCCCFA FF015231
	v_mul_f32_dpp v103, v49, v103 row_newbcast:3 row_mask:0xf bank_mask:0xf// 000000004DA4: 0ACECEFA FF015331
	v_mul_f32_e32 v104, v14, v104                              // 000000004DAC: 0AD0D10E
	v_mul_f32_e32 v105, v14, v105                              // 000000004DB0: 0AD2D30E
	v_mul_f32_e32 v106, v14, v106                              // 000000004DB4: 0AD4D50E
	v_mul_f32_e32 v107, v14, v107                              // 000000004DB8: 0AD6D70E
	v_mul_f32_dpp v104, v49, v104 row_newbcast:4 row_mask:0xf bank_mask:0xf// 000000004DBC: 0AD0D0FA FF015431
	v_mul_f32_dpp v105, v49, v105 row_newbcast:5 row_mask:0xf bank_mask:0xf// 000000004DC4: 0AD2D2FA FF015531
	v_mul_f32_dpp v106, v49, v106 row_newbcast:6 row_mask:0xf bank_mask:0xf// 000000004DCC: 0AD4D4FA FF015631
	v_mul_f32_dpp v107, v49, v107 row_newbcast:7 row_mask:0xf bank_mask:0xf// 000000004DD4: 0AD6D6FA FF015731
	v_mul_f32_e32 v108, v15, v108                              // 000000004DDC: 0AD8D90F
	v_mul_f32_e32 v109, v15, v109                              // 000000004DE0: 0ADADB0F
	v_mul_f32_e32 v110, v15, v110                              // 000000004DE4: 0ADCDD0F
	v_mul_f32_e32 v111, v15, v111                              // 000000004DE8: 0ADEDF0F
	v_mul_f32_dpp v108, v49, v108 row_newbcast:4 row_mask:0xf bank_mask:0xf// 000000004DEC: 0AD8D8FA FF015431
	v_mul_f32_dpp v109, v49, v109 row_newbcast:5 row_mask:0xf bank_mask:0xf// 000000004DF4: 0ADADAFA FF015531
	v_mul_f32_dpp v110, v49, v110 row_newbcast:6 row_mask:0xf bank_mask:0xf// 000000004DFC: 0ADCDCFA FF015631
	v_mul_f32_dpp v111, v49, v111 row_newbcast:7 row_mask:0xf bank_mask:0xf// 000000004E04: 0ADEDEFA FF015731
	s_waitcnt vmcnt(20)                                        // 000000004E0C: BF8C4F74
	buffer_load_dwordx4 a[0:3], v40, s[12:15], 0 offen         // 000000004E10: E05C1000 80830028
	v_mul_f32_e64 v50, -v128, s6                               // 000000004E18: D1050032 20000D80
	v_mul_f32_e64 v51, -v129, s6                               // 000000004E20: D1050033 20000D81
	v_mul_f32_e64 v52, -v130, s6                               // 000000004E28: D1050034 20000D82
	v_mul_f32_e64 v53, -v131, s6                               // 000000004E30: D1050035 20000D83
	v_exp_f32_e32 v50, v50                                     // 000000004E38: 7E644132
	v_exp_f32_e32 v51, v51                                     // 000000004E3C: 7E664133
	v_exp_f32_e32 v52, v52                                     // 000000004E40: 7E684134
	v_exp_f32_e32 v53, v53                                     // 000000004E44: 7E6A4135
	buffer_load_dwordx4 a[4:7], v41, s[12:15], 0 offen         // 000000004E48: E05C1000 80830429
	v_add_f32_e64 v50, v50, 1.0                                // 000000004E50: D1010032 0001E532
	v_add_f32_e64 v51, v51, 1.0                                // 000000004E58: D1010033 0001E533
	v_add_f32_e64 v52, v52, 1.0                                // 000000004E60: D1010034 0001E534
	v_add_f32_e64 v53, v53, 1.0                                // 000000004E68: D1010035 0001E535
	v_rcp_f32_e32 v50, v50                                     // 000000004E70: 7E644532
	v_rcp_f32_e32 v51, v51                                     // 000000004E74: 7E664533
	v_rcp_f32_e32 v52, v52                                     // 000000004E78: 7E684534
	v_rcp_f32_e32 v53, v53                                     // 000000004E7C: 7E6A4535
	v_mul_f32_e32 v128, v128, v50                              // 000000004E80: 0B006580
	v_mul_f32_e32 v129, v129, v51                              // 000000004E84: 0B026781
	v_mul_f32_e32 v130, v130, v52                              // 000000004E88: 0B046982
	v_mul_f32_e32 v131, v131, v53                              // 000000004E8C: 0B066B83
	v_mul_f32_e32 v128, v128, v64                              // 000000004E90: 0B008180
	v_mul_f32_e32 v129, v129, v65                              // 000000004E94: 0B028381
	v_mul_f32_e32 v130, v130, v66                              // 000000004E98: 0B048582
	v_mul_f32_e32 v131, v131, v67                              // 000000004E9C: 0B068783
	buffer_load_dwordx4 a[8:11], v42, s[12:15], 0 offen        // 000000004EA0: E05C1000 8083082A
	v_mul_f32_e64 v50, -v132, s6                               // 000000004EA8: D1050032 20000D84
	v_mul_f32_e64 v51, -v133, s6                               // 000000004EB0: D1050033 20000D85
	v_mul_f32_e64 v52, -v134, s6                               // 000000004EB8: D1050034 20000D86
	v_mul_f32_e64 v53, -v135, s6                               // 000000004EC0: D1050035 20000D87
	v_exp_f32_e32 v50, v50                                     // 000000004EC8: 7E644132
	v_exp_f32_e32 v51, v51                                     // 000000004ECC: 7E664133
	v_exp_f32_e32 v52, v52                                     // 000000004ED0: 7E684134
	v_exp_f32_e32 v53, v53                                     // 000000004ED4: 7E6A4135
	buffer_load_dwordx4 a[12:15], v43, s[12:15], 0 offen       // 000000004ED8: E05C1000 80830C2B
	s_add_u32 s12, s78, s12                                    // 000000004EE0: 800C0C4E
	s_addc_u32 s13, 0, s13                                     // 000000004EE4: 820D0D80
	v_add_f32_e64 v50, v50, 1.0                                // 000000004EE8: D1010032 0001E532
	v_add_f32_e64 v51, v51, 1.0                                // 000000004EF0: D1010033 0001E533
	v_add_f32_e64 v52, v52, 1.0                                // 000000004EF8: D1010034 0001E534
	v_add_f32_e64 v53, v53, 1.0                                // 000000004F00: D1010035 0001E535
	v_rcp_f32_e32 v50, v50                                     // 000000004F08: 7E644532
	v_rcp_f32_e32 v51, v51                                     // 000000004F0C: 7E664533
	v_rcp_f32_e32 v52, v52                                     // 000000004F10: 7E684534
	v_rcp_f32_e32 v53, v53                                     // 000000004F14: 7E6A4535
	v_mul_f32_e32 v132, v132, v50                              // 000000004F18: 0B086584
	v_mul_f32_e32 v133, v133, v51                              // 000000004F1C: 0B0A6785
	v_mul_f32_e32 v134, v134, v52                              // 000000004F20: 0B0C6986
	v_mul_f32_e32 v135, v135, v53                              // 000000004F24: 0B0E6B87
	v_mul_f32_e32 v132, v132, v68                              // 000000004F28: 0B088984
	v_mul_f32_e32 v133, v133, v69                              // 000000004F2C: 0B0A8B85
	v_mul_f32_e32 v134, v134, v70                              // 000000004F30: 0B0C8D86
	v_mul_f32_e32 v135, v135, v71                              // 000000004F34: 0B0E8F87
	s_waitcnt vmcnt(20)                                        // 000000004F38: BF8C4F74
	buffer_load_dwordx4 a[16:19], v40, s[12:15], 0 offen       // 000000004F3C: E05C1000 80831028
	v_mul_f32_e64 v50, -v136, s6                               // 000000004F44: D1050032 20000D88
	v_mul_f32_e64 v51, -v137, s6                               // 000000004F4C: D1050033 20000D89
	v_mul_f32_e64 v52, -v138, s6                               // 000000004F54: D1050034 20000D8A
	v_mul_f32_e64 v53, -v139, s6                               // 000000004F5C: D1050035 20000D8B
	v_exp_f32_e32 v50, v50                                     // 000000004F64: 7E644132
	v_exp_f32_e32 v51, v51                                     // 000000004F68: 7E664133
	v_exp_f32_e32 v52, v52                                     // 000000004F6C: 7E684134
	v_exp_f32_e32 v53, v53                                     // 000000004F70: 7E6A4135
	buffer_load_dwordx4 a[20:23], v41, s[12:15], 0 offen       // 000000004F74: E05C1000 80831429
	v_add_f32_e64 v50, v50, 1.0                                // 000000004F7C: D1010032 0001E532
	v_add_f32_e64 v51, v51, 1.0                                // 000000004F84: D1010033 0001E533
	v_add_f32_e64 v52, v52, 1.0                                // 000000004F8C: D1010034 0001E534
	v_add_f32_e64 v53, v53, 1.0                                // 000000004F94: D1010035 0001E535
	v_rcp_f32_e32 v50, v50                                     // 000000004F9C: 7E644532
	v_rcp_f32_e32 v51, v51                                     // 000000004FA0: 7E664533
	v_rcp_f32_e32 v52, v52                                     // 000000004FA4: 7E684534
	v_rcp_f32_e32 v53, v53                                     // 000000004FA8: 7E6A4535
	v_mul_f32_e32 v136, v136, v50                              // 000000004FAC: 0B106588
	v_mul_f32_e32 v137, v137, v51                              // 000000004FB0: 0B126789
	v_mul_f32_e32 v138, v138, v52                              // 000000004FB4: 0B14698A
	v_mul_f32_e32 v139, v139, v53                              // 000000004FB8: 0B166B8B
	v_mul_f32_e32 v136, v136, v72                              // 000000004FBC: 0B109188
	v_mul_f32_e32 v137, v137, v73                              // 000000004FC0: 0B129389
	v_mul_f32_e32 v138, v138, v74                              // 000000004FC4: 0B14958A
	v_mul_f32_e32 v139, v139, v75                              // 000000004FC8: 0B16978B
	buffer_load_dwordx4 a[24:27], v42, s[12:15], 0 offen       // 000000004FCC: E05C1000 8083182A
	v_mul_f32_e64 v50, -v140, s6                               // 000000004FD4: D1050032 20000D8C
	v_mul_f32_e64 v51, -v141, s6                               // 000000004FDC: D1050033 20000D8D
	v_mul_f32_e64 v52, -v142, s6                               // 000000004FE4: D1050034 20000D8E
	v_mul_f32_e64 v53, -v143, s6                               // 000000004FEC: D1050035 20000D8F
	v_exp_f32_e32 v50, v50                                     // 000000004FF4: 7E644132
	v_exp_f32_e32 v51, v51                                     // 000000004FF8: 7E664133
	v_exp_f32_e32 v52, v52                                     // 000000004FFC: 7E684134
	v_exp_f32_e32 v53, v53                                     // 000000005000: 7E6A4135
	buffer_load_dwordx4 a[28:31], v43, s[12:15], 0 offen       // 000000005004: E05C1000 80831C2B
	s_add_u32 s12, s78, s12                                    // 00000000500C: 800C0C4E
	s_addc_u32 s13, 0, s13                                     // 000000005010: 820D0D80
	v_add_f32_e64 v50, v50, 1.0                                // 000000005014: D1010032 0001E532
	v_add_f32_e64 v51, v51, 1.0                                // 00000000501C: D1010033 0001E533
	v_add_f32_e64 v52, v52, 1.0                                // 000000005024: D1010034 0001E534
	v_add_f32_e64 v53, v53, 1.0                                // 00000000502C: D1010035 0001E535
	v_rcp_f32_e32 v50, v50                                     // 000000005034: 7E644532
	v_rcp_f32_e32 v51, v51                                     // 000000005038: 7E664533
	v_rcp_f32_e32 v52, v52                                     // 00000000503C: 7E684534
	v_rcp_f32_e32 v53, v53                                     // 000000005040: 7E6A4535
	v_mul_f32_e32 v140, v140, v50                              // 000000005044: 0B18658C
	v_mul_f32_e32 v141, v141, v51                              // 000000005048: 0B1A678D
	v_mul_f32_e32 v142, v142, v52                              // 00000000504C: 0B1C698E
	v_mul_f32_e32 v143, v143, v53                              // 000000005050: 0B1E6B8F
	v_mul_f32_e32 v140, v140, v76                              // 000000005054: 0B18998C
	v_mul_f32_e32 v141, v141, v77                              // 000000005058: 0B1A9B8D
	v_mul_f32_e32 v142, v142, v78                              // 00000000505C: 0B1C9D8E
	v_mul_f32_e32 v143, v143, v79                              // 000000005060: 0B1E9F8F
	s_waitcnt vmcnt(20)                                        // 000000005064: BF8C4F74
	buffer_load_dwordx4 a[32:35], v40, s[12:15], 0 offen       // 000000005068: E05C1000 80832028
	v_mul_f32_e64 v50, -v144, s6                               // 000000005070: D1050032 20000D90
	v_mul_f32_e64 v51, -v145, s6                               // 000000005078: D1050033 20000D91
	v_mul_f32_e64 v52, -v146, s6                               // 000000005080: D1050034 20000D92
	v_mul_f32_e64 v53, -v147, s6                               // 000000005088: D1050035 20000D93
	v_exp_f32_e32 v50, v50                                     // 000000005090: 7E644132
	v_exp_f32_e32 v51, v51                                     // 000000005094: 7E664133
	v_exp_f32_e32 v52, v52                                     // 000000005098: 7E684134
	v_exp_f32_e32 v53, v53                                     // 00000000509C: 7E6A4135
	buffer_load_dwordx4 a[36:39], v41, s[12:15], 0 offen       // 0000000050A0: E05C1000 80832429
	v_add_f32_e64 v50, v50, 1.0                                // 0000000050A8: D1010032 0001E532
	v_add_f32_e64 v51, v51, 1.0                                // 0000000050B0: D1010033 0001E533
	v_add_f32_e64 v52, v52, 1.0                                // 0000000050B8: D1010034 0001E534
	v_add_f32_e64 v53, v53, 1.0                                // 0000000050C0: D1010035 0001E535
	v_rcp_f32_e32 v50, v50                                     // 0000000050C8: 7E644532
	v_rcp_f32_e32 v51, v51                                     // 0000000050CC: 7E664533
	v_rcp_f32_e32 v52, v52                                     // 0000000050D0: 7E684534
	v_rcp_f32_e32 v53, v53                                     // 0000000050D4: 7E6A4535
	v_mul_f32_e32 v144, v144, v50                              // 0000000050D8: 0B206590
	v_mul_f32_e32 v145, v145, v51                              // 0000000050DC: 0B226791
	v_mul_f32_e32 v146, v146, v52                              // 0000000050E0: 0B246992
	v_mul_f32_e32 v147, v147, v53                              // 0000000050E4: 0B266B93
	v_mul_f32_e32 v144, v144, v80                              // 0000000050E8: 0B20A190
	v_mul_f32_e32 v145, v145, v81                              // 0000000050EC: 0B22A391
	v_mul_f32_e32 v146, v146, v82                              // 0000000050F0: 0B24A592
	v_mul_f32_e32 v147, v147, v83                              // 0000000050F4: 0B26A793
	buffer_load_dwordx4 a[40:43], v42, s[12:15], 0 offen       // 0000000050F8: E05C1000 8083282A
	v_mul_f32_e64 v50, -v148, s6                               // 000000005100: D1050032 20000D94
	v_mul_f32_e64 v51, -v149, s6                               // 000000005108: D1050033 20000D95
	v_mul_f32_e64 v52, -v150, s6                               // 000000005110: D1050034 20000D96
	v_mul_f32_e64 v53, -v151, s6                               // 000000005118: D1050035 20000D97
	v_exp_f32_e32 v50, v50                                     // 000000005120: 7E644132
	v_exp_f32_e32 v51, v51                                     // 000000005124: 7E664133
	v_exp_f32_e32 v52, v52                                     // 000000005128: 7E684134
	v_exp_f32_e32 v53, v53                                     // 00000000512C: 7E6A4135
	buffer_load_dwordx4 a[44:47], v43, s[12:15], 0 offen       // 000000005130: E05C1000 80832C2B
	s_add_u32 s12, s78, s12                                    // 000000005138: 800C0C4E
	s_addc_u32 s13, 0, s13                                     // 00000000513C: 820D0D80
	v_add_f32_e64 v50, v50, 1.0                                // 000000005140: D1010032 0001E532
	v_add_f32_e64 v51, v51, 1.0                                // 000000005148: D1010033 0001E533
	v_add_f32_e64 v52, v52, 1.0                                // 000000005150: D1010034 0001E534
	v_add_f32_e64 v53, v53, 1.0                                // 000000005158: D1010035 0001E535
	v_rcp_f32_e32 v50, v50                                     // 000000005160: 7E644532
	v_rcp_f32_e32 v51, v51                                     // 000000005164: 7E664533
	v_rcp_f32_e32 v52, v52                                     // 000000005168: 7E684534
	v_rcp_f32_e32 v53, v53                                     // 00000000516C: 7E6A4535
	v_mul_f32_e32 v148, v148, v50                              // 000000005170: 0B286594
	v_mul_f32_e32 v149, v149, v51                              // 000000005174: 0B2A6795
	v_mul_f32_e32 v150, v150, v52                              // 000000005178: 0B2C6996
	v_mul_f32_e32 v151, v151, v53                              // 00000000517C: 0B2E6B97
	v_mul_f32_e32 v148, v148, v84                              // 000000005180: 0B28A994
	v_mul_f32_e32 v149, v149, v85                              // 000000005184: 0B2AAB95
	v_mul_f32_e32 v150, v150, v86                              // 000000005188: 0B2CAD96
	v_mul_f32_e32 v151, v151, v87                              // 00000000518C: 0B2EAF97
	s_waitcnt vmcnt(20)                                        // 000000005190: BF8C4F74
	buffer_load_dwordx4 a[48:51], v40, s[12:15], 0 offen       // 000000005194: E05C1000 80833028
	v_mul_f32_e64 v50, -v152, s6                               // 00000000519C: D1050032 20000D98
	v_mul_f32_e64 v51, -v153, s6                               // 0000000051A4: D1050033 20000D99
	v_mul_f32_e64 v52, -v154, s6                               // 0000000051AC: D1050034 20000D9A
	v_mul_f32_e64 v53, -v155, s6                               // 0000000051B4: D1050035 20000D9B
	v_exp_f32_e32 v50, v50                                     // 0000000051BC: 7E644132
	v_exp_f32_e32 v51, v51                                     // 0000000051C0: 7E664133
	v_exp_f32_e32 v52, v52                                     // 0000000051C4: 7E684134
	v_exp_f32_e32 v53, v53                                     // 0000000051C8: 7E6A4135
	buffer_load_dwordx4 a[52:55], v41, s[12:15], 0 offen       // 0000000051CC: E05C1000 80833429
	v_add_f32_e64 v50, v50, 1.0                                // 0000000051D4: D1010032 0001E532
	v_add_f32_e64 v51, v51, 1.0                                // 0000000051DC: D1010033 0001E533
	v_add_f32_e64 v52, v52, 1.0                                // 0000000051E4: D1010034 0001E534
	v_add_f32_e64 v53, v53, 1.0                                // 0000000051EC: D1010035 0001E535
	v_rcp_f32_e32 v50, v50                                     // 0000000051F4: 7E644532
	v_rcp_f32_e32 v51, v51                                     // 0000000051F8: 7E664533
	v_rcp_f32_e32 v52, v52                                     // 0000000051FC: 7E684534
	v_rcp_f32_e32 v53, v53                                     // 000000005200: 7E6A4535
	v_mul_f32_e32 v152, v152, v50                              // 000000005204: 0B306598
	v_mul_f32_e32 v153, v153, v51                              // 000000005208: 0B326799
	v_mul_f32_e32 v154, v154, v52                              // 00000000520C: 0B34699A
	v_mul_f32_e32 v155, v155, v53                              // 000000005210: 0B366B9B
	v_mul_f32_e32 v152, v152, v88                              // 000000005214: 0B30B198
	v_mul_f32_e32 v153, v153, v89                              // 000000005218: 0B32B399
	v_mul_f32_e32 v154, v154, v90                              // 00000000521C: 0B34B59A
	v_mul_f32_e32 v155, v155, v91                              // 000000005220: 0B36B79B
	buffer_load_dwordx4 a[56:59], v42, s[12:15], 0 offen       // 000000005224: E05C1000 8083382A
	v_mul_f32_e64 v50, -v156, s6                               // 00000000522C: D1050032 20000D9C
	v_mul_f32_e64 v51, -v157, s6                               // 000000005234: D1050033 20000D9D
	v_mul_f32_e64 v52, -v158, s6                               // 00000000523C: D1050034 20000D9E
	v_mul_f32_e64 v53, -v159, s6                               // 000000005244: D1050035 20000D9F
	v_exp_f32_e32 v50, v50                                     // 00000000524C: 7E644132
	v_exp_f32_e32 v51, v51                                     // 000000005250: 7E664133
	v_exp_f32_e32 v52, v52                                     // 000000005254: 7E684134
	v_exp_f32_e32 v53, v53                                     // 000000005258: 7E6A4135
	buffer_load_dwordx4 a[60:63], v43, s[12:15], 0 offen       // 00000000525C: E05C1000 80833C2B
	s_add_u32 s12, s78, s12                                    // 000000005264: 800C0C4E
	s_addc_u32 s13, 0, s13                                     // 000000005268: 820D0D80
	v_add_f32_e64 v50, v50, 1.0                                // 00000000526C: D1010032 0001E532
	v_add_f32_e64 v51, v51, 1.0                                // 000000005274: D1010033 0001E533
	v_add_f32_e64 v52, v52, 1.0                                // 00000000527C: D1010034 0001E534
	v_add_f32_e64 v53, v53, 1.0                                // 000000005284: D1010035 0001E535
	v_rcp_f32_e32 v50, v50                                     // 00000000528C: 7E644532
	v_rcp_f32_e32 v51, v51                                     // 000000005290: 7E664533
	v_rcp_f32_e32 v52, v52                                     // 000000005294: 7E684534
	v_rcp_f32_e32 v53, v53                                     // 000000005298: 7E6A4535
	v_mul_f32_e32 v156, v156, v50                              // 00000000529C: 0B38659C
	v_mul_f32_e32 v157, v157, v51                              // 0000000052A0: 0B3A679D
	v_mul_f32_e32 v158, v158, v52                              // 0000000052A4: 0B3C699E
	v_mul_f32_e32 v159, v159, v53                              // 0000000052A8: 0B3E6B9F
	v_mul_f32_e32 v156, v156, v92                              // 0000000052AC: 0B38B99C
	v_mul_f32_e32 v157, v157, v93                              // 0000000052B0: 0B3ABB9D
	v_mul_f32_e32 v158, v158, v94                              // 0000000052B4: 0B3CBD9E
	v_mul_f32_e32 v159, v159, v95                              // 0000000052B8: 0B3EBF9F
	s_waitcnt vmcnt(20)                                        // 0000000052BC: BF8C4F74
	buffer_load_dwordx4 a[64:67], v40, s[12:15], 0 offen       // 0000000052C0: E05C1000 80834028
	v_mul_f32_e64 v50, -v160, s6                               // 0000000052C8: D1050032 20000DA0
	v_mul_f32_e64 v51, -v161, s6                               // 0000000052D0: D1050033 20000DA1
	v_mul_f32_e64 v52, -v162, s6                               // 0000000052D8: D1050034 20000DA2
	v_mul_f32_e64 v53, -v163, s6                               // 0000000052E0: D1050035 20000DA3
	v_exp_f32_e32 v50, v50                                     // 0000000052E8: 7E644132
	v_exp_f32_e32 v51, v51                                     // 0000000052EC: 7E664133
	v_exp_f32_e32 v52, v52                                     // 0000000052F0: 7E684134
	v_exp_f32_e32 v53, v53                                     // 0000000052F4: 7E6A4135
	buffer_load_dwordx4 a[68:71], v41, s[12:15], 0 offen       // 0000000052F8: E05C1000 80834429
	v_add_f32_e64 v50, v50, 1.0                                // 000000005300: D1010032 0001E532
	v_add_f32_e64 v51, v51, 1.0                                // 000000005308: D1010033 0001E533
	v_add_f32_e64 v52, v52, 1.0                                // 000000005310: D1010034 0001E534
	v_add_f32_e64 v53, v53, 1.0                                // 000000005318: D1010035 0001E535
	v_rcp_f32_e32 v50, v50                                     // 000000005320: 7E644532
	v_rcp_f32_e32 v51, v51                                     // 000000005324: 7E664533
	v_rcp_f32_e32 v52, v52                                     // 000000005328: 7E684534
	v_rcp_f32_e32 v53, v53                                     // 00000000532C: 7E6A4535
	v_mul_f32_e32 v160, v160, v50                              // 000000005330: 0B4065A0
	v_mul_f32_e32 v161, v161, v51                              // 000000005334: 0B4267A1
	v_mul_f32_e32 v162, v162, v52                              // 000000005338: 0B4469A2
	v_mul_f32_e32 v163, v163, v53                              // 00000000533C: 0B466BA3
	v_mul_f32_e32 v160, v160, v96                              // 000000005340: 0B40C1A0
	v_mul_f32_e32 v161, v161, v97                              // 000000005344: 0B42C3A1
	v_mul_f32_e32 v162, v162, v98                              // 000000005348: 0B44C5A2
	v_mul_f32_e32 v163, v163, v99                              // 00000000534C: 0B46C7A3
	buffer_load_dwordx4 a[72:75], v42, s[12:15], 0 offen       // 000000005350: E05C1000 8083482A
	v_mul_f32_e64 v50, -v164, s6                               // 000000005358: D1050032 20000DA4
	v_mul_f32_e64 v51, -v165, s6                               // 000000005360: D1050033 20000DA5
	v_mul_f32_e64 v52, -v166, s6                               // 000000005368: D1050034 20000DA6
	v_mul_f32_e64 v53, -v167, s6                               // 000000005370: D1050035 20000DA7
	v_exp_f32_e32 v50, v50                                     // 000000005378: 7E644132
	v_exp_f32_e32 v51, v51                                     // 00000000537C: 7E664133
	v_exp_f32_e32 v52, v52                                     // 000000005380: 7E684134
	v_exp_f32_e32 v53, v53                                     // 000000005384: 7E6A4135
	buffer_load_dwordx4 a[76:79], v43, s[12:15], 0 offen       // 000000005388: E05C1000 80834C2B
	s_add_u32 s12, s78, s12                                    // 000000005390: 800C0C4E
	s_addc_u32 s13, 0, s13                                     // 000000005394: 820D0D80
	v_add_f32_e64 v50, v50, 1.0                                // 000000005398: D1010032 0001E532
	v_add_f32_e64 v51, v51, 1.0                                // 0000000053A0: D1010033 0001E533
	v_add_f32_e64 v52, v52, 1.0                                // 0000000053A8: D1010034 0001E534
	v_add_f32_e64 v53, v53, 1.0                                // 0000000053B0: D1010035 0001E535
	v_rcp_f32_e32 v50, v50                                     // 0000000053B8: 7E644532
	v_rcp_f32_e32 v51, v51                                     // 0000000053BC: 7E664533
	v_rcp_f32_e32 v52, v52                                     // 0000000053C0: 7E684534
	v_rcp_f32_e32 v53, v53                                     // 0000000053C4: 7E6A4535
	v_mul_f32_e32 v164, v164, v50                              // 0000000053C8: 0B4865A4
	v_mul_f32_e32 v165, v165, v51                              // 0000000053CC: 0B4A67A5
	v_mul_f32_e32 v166, v166, v52                              // 0000000053D0: 0B4C69A6
	v_mul_f32_e32 v167, v167, v53                              // 0000000053D4: 0B4E6BA7
	v_mul_f32_e32 v164, v164, v100                             // 0000000053D8: 0B48C9A4
	v_mul_f32_e32 v165, v165, v101                             // 0000000053DC: 0B4ACBA5
	v_mul_f32_e32 v166, v166, v102                             // 0000000053E0: 0B4CCDA6
	v_mul_f32_e32 v167, v167, v103                             // 0000000053E4: 0B4ECFA7
	s_waitcnt vmcnt(20)                                        // 0000000053E8: BF8C4F74
	buffer_load_dwordx4 a[80:83], v40, s[12:15], 0 offen       // 0000000053EC: E05C1000 80835028
	v_mul_f32_e64 v50, -v168, s6                               // 0000000053F4: D1050032 20000DA8
	v_mul_f32_e64 v51, -v169, s6                               // 0000000053FC: D1050033 20000DA9
	v_mul_f32_e64 v52, -v170, s6                               // 000000005404: D1050034 20000DAA
	v_mul_f32_e64 v53, -v171, s6                               // 00000000540C: D1050035 20000DAB
	v_exp_f32_e32 v50, v50                                     // 000000005414: 7E644132
	v_exp_f32_e32 v51, v51                                     // 000000005418: 7E664133
	v_exp_f32_e32 v52, v52                                     // 00000000541C: 7E684134
	v_exp_f32_e32 v53, v53                                     // 000000005420: 7E6A4135
	buffer_load_dwordx4 a[84:87], v41, s[12:15], 0 offen       // 000000005424: E05C1000 80835429
	v_add_f32_e64 v50, v50, 1.0                                // 00000000542C: D1010032 0001E532
	v_add_f32_e64 v51, v51, 1.0                                // 000000005434: D1010033 0001E533
	v_add_f32_e64 v52, v52, 1.0                                // 00000000543C: D1010034 0001E534
	v_add_f32_e64 v53, v53, 1.0                                // 000000005444: D1010035 0001E535
	v_rcp_f32_e32 v50, v50                                     // 00000000544C: 7E644532
	v_rcp_f32_e32 v51, v51                                     // 000000005450: 7E664533
	v_rcp_f32_e32 v52, v52                                     // 000000005454: 7E684534
	v_rcp_f32_e32 v53, v53                                     // 000000005458: 7E6A4535
	v_mul_f32_e32 v168, v168, v50                              // 00000000545C: 0B5065A8
	v_mul_f32_e32 v169, v169, v51                              // 000000005460: 0B5267A9
	v_mul_f32_e32 v170, v170, v52                              // 000000005464: 0B5469AA
	v_mul_f32_e32 v171, v171, v53                              // 000000005468: 0B566BAB
	v_mul_f32_e32 v168, v168, v104                             // 00000000546C: 0B50D1A8
	v_mul_f32_e32 v169, v169, v105                             // 000000005470: 0B52D3A9
	v_mul_f32_e32 v170, v170, v106                             // 000000005474: 0B54D5AA
	v_mul_f32_e32 v171, v171, v107                             // 000000005478: 0B56D7AB
	buffer_load_dwordx4 a[88:91], v42, s[12:15], 0 offen       // 00000000547C: E05C1000 8083582A
	v_mul_f32_e64 v50, -v172, s6                               // 000000005484: D1050032 20000DAC
	v_mul_f32_e64 v51, -v173, s6                               // 00000000548C: D1050033 20000DAD
	v_mul_f32_e64 v52, -v174, s6                               // 000000005494: D1050034 20000DAE
	v_mul_f32_e64 v53, -v175, s6                               // 00000000549C: D1050035 20000DAF
	v_exp_f32_e32 v50, v50                                     // 0000000054A4: 7E644132
	v_exp_f32_e32 v51, v51                                     // 0000000054A8: 7E664133
	v_exp_f32_e32 v52, v52                                     // 0000000054AC: 7E684134
	v_exp_f32_e32 v53, v53                                     // 0000000054B0: 7E6A4135
	buffer_load_dwordx4 a[92:95], v43, s[12:15], 0 offen       // 0000000054B4: E05C1000 80835C2B
	v_add_f32_e64 v50, v50, 1.0                                // 0000000054BC: D1010032 0001E532
	v_add_f32_e64 v51, v51, 1.0                                // 0000000054C4: D1010033 0001E533
	v_add_f32_e64 v52, v52, 1.0                                // 0000000054CC: D1010034 0001E534
	v_add_f32_e64 v53, v53, 1.0                                // 0000000054D4: D1010035 0001E535
	v_rcp_f32_e32 v50, v50                                     // 0000000054DC: 7E644532
	v_rcp_f32_e32 v51, v51                                     // 0000000054E0: 7E664533
	v_rcp_f32_e32 v52, v52                                     // 0000000054E4: 7E684534
	v_rcp_f32_e32 v53, v53                                     // 0000000054E8: 7E6A4535
	v_mul_f32_e32 v172, v172, v50                              // 0000000054EC: 0B5865AC
	v_mul_f32_e32 v173, v173, v51                              // 0000000054F0: 0B5A67AD
	v_mul_f32_e32 v174, v174, v52                              // 0000000054F4: 0B5C69AE
	v_mul_f32_e32 v175, v175, v53                              // 0000000054F8: 0B5E6BAF
	v_mul_f32_e32 v172, v172, v108                             // 0000000054FC: 0B58D9AC
	v_mul_f32_e32 v173, v173, v109                             // 000000005500: 0B5ADBAD
	v_mul_f32_e32 v174, v174, v110                             // 000000005504: 0B5CDDAE
	v_mul_f32_e32 v175, v175, v111                             // 000000005508: 0B5EDFAF
	v_lshlrev_b32_e32 v50, 2, v0                               // 00000000550C: 24640082
	s_mul_i32 s60, s82, s71                                    // 000000005510: 923C4752
	v_add_u32_e64 v80, v50, s60                                // 000000005514: D1340050 00007932
	v_mov_b32_e32 v81, 0                                       // 00000000551C: 7EA20280
	s_mul_i32 s60, s83, s71                                    // 000000005520: 923C4753
	v_add_u32_e64 v82, v50, s60                                // 000000005524: D1340052 00007932
	v_mov_b32_e32 v83, 0                                       // 00000000552C: 7EA60280
	s_mul_i32 s60, s84, s71                                    // 000000005530: 923C4754
	v_add_u32_e64 v84, v50, s60                                // 000000005534: D1340054 00007932
	v_mov_b32_e32 v85, 0                                       // 00000000553C: 7EAA0280
	s_mul_i32 s60, s85, s71                                    // 000000005540: 923C4755
	v_add_u32_e64 v86, v50, s60                                // 000000005544: D1340056 00007932
	v_mov_b32_e32 v87, 0                                       // 00000000554C: 7EAE0280
	s_mul_i32 s60, s86, s71                                    // 000000005550: 923C4756
	v_add_u32_e64 v88, v50, s60                                // 000000005554: D1340058 00007932
	v_mov_b32_e32 v89, 0                                       // 00000000555C: 7EB20280
	s_mul_i32 s60, s87, s71                                    // 000000005560: 923C4757
	v_add_u32_e64 v90, v50, s60                                // 000000005564: D134005A 00007932
	v_mov_b32_e32 v91, 0                                       // 00000000556C: 7EB60280
	s_mul_i32 s60, s88, s71                                    // 000000005570: 923C4758
	v_add_u32_e64 v92, v50, s60                                // 000000005574: D134005C 00007932
	v_mov_b32_e32 v93, 0                                       // 00000000557C: 7EBA0280
	s_mul_i32 s60, s89, s71                                    // 000000005580: 923C4759
	v_add_u32_e64 v94, v50, s60                                // 000000005584: D134005E 00007932
	v_mov_b32_e32 v95, 0                                       // 00000000558C: 7EBE0280
	buffer_load_dword v12, v5, s[16:19], 0 offen               // 000000005590: E0501000 80040C05
	v_mov_b32_e32 v22, 0x358637bd                              // 000000005598: 7E2C02FF 358637BD
	v_mov_b32_e32 v23, 0x358637bd                              // 0000000055A0: 7E2E02FF 358637BD
	v_max3_f32 v22, |v128|, |v129|, v22                        // 0000000055A8: D1D30316 045B0380
	v_max3_f32 v22, |v130|, |v131|, v22                        // 0000000055B0: D1D30316 045B0782
	v_max3_f32 v23, |v132|, |v133|, v23                        // 0000000055B8: D1D30317 045F0B84
	v_max3_f32 v23, |v134|, |v135|, v23                        // 0000000055C0: D1D30317 045F0F86
	v_max3_f32 v22, |v136|, |v137|, v22                        // 0000000055C8: D1D30316 045B1388
	v_max3_f32 v22, |v138|, |v139|, v22                        // 0000000055D0: D1D30316 045B178A
	v_max3_f32 v23, |v140|, |v141|, v23                        // 0000000055D8: D1D30317 045F1B8C
	v_max3_f32 v23, |v142|, |v143|, v23                        // 0000000055E0: D1D30317 045F1F8E
	v_max3_f32 v22, |v144|, |v145|, v22                        // 0000000055E8: D1D30316 045B2390
	v_max3_f32 v22, |v146|, |v147|, v22                        // 0000000055F0: D1D30316 045B2792
	v_max3_f32 v23, |v148|, |v149|, v23                        // 0000000055F8: D1D30317 045F2B94
	v_max3_f32 v23, |v150|, |v151|, v23                        // 000000005600: D1D30317 045F2F96
	v_max3_f32 v22, |v152|, |v153|, v22                        // 000000005608: D1D30316 045B3398
	v_max3_f32 v22, |v154|, |v155|, v22                        // 000000005610: D1D30316 045B379A
	v_max3_f32 v23, |v156|, |v157|, v23                        // 000000005618: D1D30317 045F3B9C
	v_max3_f32 v23, |v158|, |v159|, v23                        // 000000005620: D1D30317 045F3F9E
	v_max3_f32 v22, |v160|, |v161|, v22                        // 000000005628: D1D30316 045B43A0
	v_max3_f32 v22, |v162|, |v163|, v22                        // 000000005630: D1D30316 045B47A2
	v_max3_f32 v23, |v164|, |v165|, v23                        // 000000005638: D1D30317 045F4BA4
	v_max3_f32 v23, |v166|, |v167|, v23                        // 000000005640: D1D30317 045F4FA6
	v_max3_f32 v22, |v168|, |v169|, v22                        // 000000005648: D1D30316 045B53A8
	v_max3_f32 v22, |v170|, |v171|, v22                        // 000000005650: D1D30316 045B57AA
	v_max3_f32 v23, |v172|, |v173|, v23                        // 000000005658: D1D30317 045F5BAC
	v_max3_f32 v23, |v174|, |v175|, v23                        // 000000005660: D1D30317 045F5FAE
	v_lshlrev_b32_e32 v50, 3, v0                               // 000000005668: 24640083
	s_mul_i32 s60, 0x200, s7                                   // 00000000566C: 923C07FF 00000200
	v_add_u32_e32 v50, s60, v50                                // 000000005674: 6864643C
	ds_write_b64 v50, v[22:23] offset:16640                    // 000000005678: D89A4100 00001632
	s_waitcnt lgkmcnt(0)                                       // 000000005680: BF8CC07F
	s_barrier                                                  // 000000005684: BF8A0000
	v_and_b32_e32 v50, 15, v0                                  // 000000005688: 2664008F
	v_lshlrev_b32_e32 v50, 3, v50                              // 00000000568C: 24646483
	ds_read_b64 v[96:97], v50 offset:16640                     // 000000005690: D8EC4100 60000032
	ds_read_b64 v[98:99], v50 offset:16768                     // 000000005698: D8EC4180 62000032
	ds_read_b64 v[100:101], v50 offset:16896                   // 0000000056A0: D8EC4200 64000032
	ds_read_b64 v[102:103], v50 offset:17024                   // 0000000056A8: D8EC4280 66000032
	ds_read_b64 v[104:105], v50 offset:17152                   // 0000000056B0: D8EC4300 68000032
	ds_read_b64 v[106:107], v50 offset:17280                   // 0000000056B8: D8EC4380 6A000032
	ds_read_b64 v[108:109], v50 offset:17408                   // 0000000056C0: D8EC4400 6C000032
	ds_read_b64 v[110:111], v50 offset:17536                   // 0000000056C8: D8EC4480 6E000032
	ds_read_b64 v[112:113], v50 offset:17664                   // 0000000056D0: D8EC4500 70000032
	ds_read_b64 v[114:115], v50 offset:17792                   // 0000000056D8: D8EC4580 72000032
	ds_read_b64 v[116:117], v50 offset:17920                   // 0000000056E0: D8EC4600 74000032
	ds_read_b64 v[118:119], v50 offset:18048                   // 0000000056E8: D8EC4680 76000032
	ds_read_b64 v[120:121], v50 offset:18176                   // 0000000056F0: D8EC4700 78000032
	ds_read_b64 v[122:123], v50 offset:18304                   // 0000000056F8: D8EC4780 7A000032
	ds_read_b64 v[124:125], v50 offset:18432                   // 000000005700: D8EC4800 7C000032
	ds_read_b64 v[126:127], v50 offset:18560                   // 000000005708: D8EC4880 7E000032
	s_waitcnt lgkmcnt(0)                                       // 000000005710: BF8CC07F
	v_max3_f32 v22, |v96|, |v98|, v22                          // 000000005714: D1D30316 045AC560
	v_max3_f32 v23, |v97|, |v99|, v23                          // 00000000571C: D1D30317 045EC761
	v_max3_f32 v22, |v100|, |v102|, v22                        // 000000005724: D1D30316 045ACD64
	v_max3_f32 v23, |v101|, |v103|, v23                        // 00000000572C: D1D30317 045ECF65
	v_max3_f32 v22, |v104|, |v106|, v22                        // 000000005734: D1D30316 045AD568
	v_max3_f32 v23, |v105|, |v107|, v23                        // 00000000573C: D1D30317 045ED769
	v_max3_f32 v22, |v108|, |v110|, v22                        // 000000005744: D1D30316 045ADD6C
	v_max3_f32 v23, |v109|, |v111|, v23                        // 00000000574C: D1D30317 045EDF6D
	v_max3_f32 v22, |v112|, |v114|, v22                        // 000000005754: D1D30316 045AE570
	v_max3_f32 v23, |v113|, |v115|, v23                        // 00000000575C: D1D30317 045EE771
	v_max3_f32 v22, |v116|, |v118|, v22                        // 000000005764: D1D30316 045AED74
	v_max3_f32 v23, |v117|, |v119|, v23                        // 00000000576C: D1D30317 045EEF75
	v_max3_f32 v22, |v120|, |v122|, v22                        // 000000005774: D1D30316 045AF578
	v_max3_f32 v23, |v121|, |v123|, v23                        // 00000000577C: D1D30317 045EF779
	v_max3_f32 v22, |v124|, |v126|, v22                        // 000000005784: D1D30316 045AFD7C
	v_max3_f32 v23, |v125|, |v127|, v23                        // 00000000578C: D1D30317 045EFF7D
	v_rcp_f32_e32 v22, v22                                     // 000000005794: 7E2C4516
	v_rcp_f32_e32 v23, v23                                     // 000000005798: 7E2E4517
	v_mov_b32_e32 v50, 0x43700000                              // 00000000579C: 7E6402FF 43700000
	v_mul_f32_e32 v22, v50, v22                                // 0000000057A4: 0A2C2D32
	v_mul_f32_e32 v23, v50, v23                                // 0000000057A8: 0A2E2F32
	v_mul_f32_e32 v128, v22, v128                              // 0000000057AC: 0B010116
	v_mul_f32_e32 v129, v22, v129                              // 0000000057B0: 0B030316
	v_mul_f32_e32 v130, v22, v130                              // 0000000057B4: 0B050516
	v_mul_f32_e32 v131, v22, v131                              // 0000000057B8: 0B070716
	v_cvt_pk_fp8_f32 v128, v128, v129                          // 0000000057BC: D2A20080 00030380
	v_cvt_pk_fp8_f32 v128, v130, v131 op_sel:[0,0,1]           // 0000000057C4: D2A24080 00030782
	v_mul_f32_e32 v132, v23, v132                              // 0000000057CC: 0B090917
	v_mul_f32_e32 v133, v23, v133                              // 0000000057D0: 0B0B0B17
	v_mul_f32_e32 v134, v23, v134                              // 0000000057D4: 0B0D0D17
	v_mul_f32_e32 v135, v23, v135                              // 0000000057D8: 0B0F0F17
	v_cvt_pk_fp8_f32 v129, v132, v133                          // 0000000057DC: D2A20081 00030B84
	v_cvt_pk_fp8_f32 v129, v134, v135 op_sel:[0,0,1]           // 0000000057E4: D2A24081 00030F86
	v_mul_f32_e32 v136, v22, v136                              // 0000000057EC: 0B111116
	v_mul_f32_e32 v137, v22, v137                              // 0000000057F0: 0B131316
	v_mul_f32_e32 v138, v22, v138                              // 0000000057F4: 0B151516
	v_mul_f32_e32 v139, v22, v139                              // 0000000057F8: 0B171716
	v_cvt_pk_fp8_f32 v130, v136, v137                          // 0000000057FC: D2A20082 00031388
	v_cvt_pk_fp8_f32 v130, v138, v139 op_sel:[0,0,1]           // 000000005804: D2A24082 0003178A
	v_mul_f32_e32 v140, v23, v140                              // 00000000580C: 0B191917
	v_mul_f32_e32 v141, v23, v141                              // 000000005810: 0B1B1B17
	v_mul_f32_e32 v142, v23, v142                              // 000000005814: 0B1D1D17
	v_mul_f32_e32 v143, v23, v143                              // 000000005818: 0B1F1F17
	v_cvt_pk_fp8_f32 v131, v140, v141                          // 00000000581C: D2A20083 00031B8C
	v_cvt_pk_fp8_f32 v131, v142, v143 op_sel:[0,0,1]           // 000000005824: D2A24083 00031F8E
	v_mul_f32_e32 v144, v22, v144                              // 00000000582C: 0B212116
	v_mul_f32_e32 v145, v22, v145                              // 000000005830: 0B232316
	v_mul_f32_e32 v146, v22, v146                              // 000000005834: 0B252516
	v_mul_f32_e32 v147, v22, v147                              // 000000005838: 0B272716
	v_cvt_pk_fp8_f32 v132, v144, v145                          // 00000000583C: D2A20084 00032390
	v_cvt_pk_fp8_f32 v132, v146, v147 op_sel:[0,0,1]           // 000000005844: D2A24084 00032792
	v_mul_f32_e32 v148, v23, v148                              // 00000000584C: 0B292917
	v_mul_f32_e32 v149, v23, v149                              // 000000005850: 0B2B2B17
	v_mul_f32_e32 v150, v23, v150                              // 000000005854: 0B2D2D17
	v_mul_f32_e32 v151, v23, v151                              // 000000005858: 0B2F2F17
	v_cvt_pk_fp8_f32 v133, v148, v149                          // 00000000585C: D2A20085 00032B94
	v_cvt_pk_fp8_f32 v133, v150, v151 op_sel:[0,0,1]           // 000000005864: D2A24085 00032F96
	v_mul_f32_e32 v152, v22, v152                              // 00000000586C: 0B313116
	v_mul_f32_e32 v153, v22, v153                              // 000000005870: 0B333316
	v_mul_f32_e32 v154, v22, v154                              // 000000005874: 0B353516
	v_mul_f32_e32 v155, v22, v155                              // 000000005878: 0B373716
	v_cvt_pk_fp8_f32 v134, v152, v153                          // 00000000587C: D2A20086 00033398
	v_cvt_pk_fp8_f32 v134, v154, v155 op_sel:[0,0,1]           // 000000005884: D2A24086 0003379A
	v_mul_f32_e32 v156, v23, v156                              // 00000000588C: 0B393917
	v_mul_f32_e32 v157, v23, v157                              // 000000005890: 0B3B3B17
	v_mul_f32_e32 v158, v23, v158                              // 000000005894: 0B3D3D17
	v_mul_f32_e32 v159, v23, v159                              // 000000005898: 0B3F3F17
	v_cvt_pk_fp8_f32 v135, v156, v157                          // 00000000589C: D2A20087 00033B9C
	v_cvt_pk_fp8_f32 v135, v158, v159 op_sel:[0,0,1]           // 0000000058A4: D2A24087 00033F9E
	v_mul_f32_e32 v160, v22, v160                              // 0000000058AC: 0B414116
	v_mul_f32_e32 v161, v22, v161                              // 0000000058B0: 0B434316
	v_mul_f32_e32 v162, v22, v162                              // 0000000058B4: 0B454516
	v_mul_f32_e32 v163, v22, v163                              // 0000000058B8: 0B474716
	v_cvt_pk_fp8_f32 v136, v160, v161                          // 0000000058BC: D2A20088 000343A0
	v_cvt_pk_fp8_f32 v136, v162, v163 op_sel:[0,0,1]           // 0000000058C4: D2A24088 000347A2
	v_mul_f32_e32 v164, v23, v164                              // 0000000058CC: 0B494917
	v_mul_f32_e32 v165, v23, v165                              // 0000000058D0: 0B4B4B17
	v_mul_f32_e32 v166, v23, v166                              // 0000000058D4: 0B4D4D17
	v_mul_f32_e32 v167, v23, v167                              // 0000000058D8: 0B4F4F17
	v_cvt_pk_fp8_f32 v137, v164, v165                          // 0000000058DC: D2A20089 00034BA4
	v_cvt_pk_fp8_f32 v137, v166, v167 op_sel:[0,0,1]           // 0000000058E4: D2A24089 00034FA6
	v_mul_f32_e32 v168, v22, v168                              // 0000000058EC: 0B515116
	v_mul_f32_e32 v169, v22, v169                              // 0000000058F0: 0B535316
	v_mul_f32_e32 v170, v22, v170                              // 0000000058F4: 0B555516
	v_mul_f32_e32 v171, v22, v171                              // 0000000058F8: 0B575716
	v_cvt_pk_fp8_f32 v138, v168, v169                          // 0000000058FC: D2A2008A 000353A8
	v_cvt_pk_fp8_f32 v138, v170, v171 op_sel:[0,0,1]           // 000000005904: D2A2408A 000357AA
	v_mul_f32_e32 v172, v23, v172                              // 00000000590C: 0B595917
	v_mul_f32_e32 v173, v23, v173                              // 000000005910: 0B5B5B17
	v_mul_f32_e32 v174, v23, v174                              // 000000005914: 0B5D5D17
	v_mul_f32_e32 v175, v23, v175                              // 000000005918: 0B5F5F17
	v_cvt_pk_fp8_f32 v139, v172, v173                          // 00000000591C: D2A2008B 00035BAC
	v_cvt_pk_fp8_f32 v139, v174, v175 op_sel:[0,0,1]           // 000000005924: D2A2408B 00035FAE
	v_rcp_f32_e32 v24, v22                                     // 00000000592C: 7E304516
	v_rcp_f32_e32 v25, v23                                     // 000000005930: 7E324517
	v_lshrrev_b32_e32 v50, 5, v0                               // 000000005934: 20640085
	v_lshlrev_b32_e32 v51, 5, v50                              // 000000005938: 24666485
	v_and_b32_e32 v50, 31, v0                                  // 00000000593C: 2664009F
	v_lshrrev_b32_e32 v52, 4, v50                              // 000000005940: 20686484
	v_add_u32_e32 v51, v52, v51                                // 000000005944: 68666734
	v_and_b32_e32 v50, 15, v0                                  // 000000005948: 2664008F
	v_lshlrev_b32_e32 v50, 1, v50                              // 00000000594C: 24646481
	v_add_u32_e32 v51, v50, v51                                // 000000005950: 68666732
	v_lshlrev_b32_e32 v50, 2, v51                              // 000000005954: 24646682
	s_mul_i32 s60, 0x100, s7                                   // 000000005958: 923C07FF 00000100
	v_add_u32_e64 v50, v50, s60                                // 000000005960: D1340032 00007932
	ds_write_b32 v50, v128 offset:18688                        // 000000005968: D81A4900 00008032
	ds_write_b32 v50, v129 offset:24832                        // 000000005970: D81A6100 00008132
	ds_write_b32 v50, v130 offset:19712                        // 000000005978: D81A4D00 00008232
	ds_write_b32 v50, v131 offset:25856                        // 000000005980: D81A6500 00008332
	ds_write_b32 v50, v132 offset:20736                        // 000000005988: D81A5100 00008432
	ds_write_b32 v50, v133 offset:26880                        // 000000005990: D81A6900 00008532
	ds_write_b32 v50, v134 offset:21760                        // 000000005998: D81A5500 00008632
	ds_write_b32 v50, v135 offset:27904                        // 0000000059A0: D81A6D00 00008732
	ds_write_b32 v50, v136 offset:22784                        // 0000000059A8: D81A5900 00008832
	ds_write_b32 v50, v137 offset:28928                        // 0000000059B0: D81A7100 00008932
	ds_write_b32 v50, v138 offset:23808                        // 0000000059B8: D81A5D00 00008A32
	ds_write_b32 v50, v139 offset:29952                        // 0000000059C0: D81A7500 00008B32
	s_waitcnt lgkmcnt(0)                                       // 0000000059C8: BF8CC07F
	s_barrier                                                  // 0000000059CC: BF8A0000
	v_lshrrev_b32_e32 v50, 4, v0                               // 0000000059D0: 20640084
	v_lshlrev_b32_e32 v51, 6, v50                              // 0000000059D4: 24666486
	v_and_b32_e32 v50, 15, v0                                  // 0000000059D8: 2664008F
	v_lshlrev_b32_e32 v50, 1, v50                              // 0000000059DC: 24646481
	v_add_u32_e32 v51, v50, v51                                // 0000000059E0: 68666732
	v_lshlrev_b32_e32 v50, 2, v51                              // 0000000059E4: 24646682
	ds_read_b64 v[128:129], v50 offset:18688                   // 0000000059E8: D8EC4900 80000032
	ds_read_b64 v[130:131], v50 offset:18816                   // 0000000059F0: D8EC4980 82000032
	ds_read_b64 v[132:133], v50 offset:19712                   // 0000000059F8: D8EC4D00 84000032
	ds_read_b64 v[134:135], v50 offset:19840                   // 000000005A00: D8EC4D80 86000032
	ds_read_b64 v[136:137], v50 offset:20736                   // 000000005A08: D8EC5100 88000032
	ds_read_b64 v[138:139], v50 offset:20864                   // 000000005A10: D8EC5180 8A000032
	ds_read_b64 v[140:141], v50 offset:21760                   // 000000005A18: D8EC5500 8C000032
	ds_read_b64 v[142:143], v50 offset:21888                   // 000000005A20: D8EC5580 8E000032
	ds_read_b64 v[144:145], v50 offset:22784                   // 000000005A28: D8EC5900 90000032
	ds_read_b64 v[146:147], v50 offset:22912                   // 000000005A30: D8EC5980 92000032
	ds_read_b64 v[148:149], v50 offset:23808                   // 000000005A38: D8EC5D00 94000032
	ds_read_b64 v[150:151], v50 offset:23936                   // 000000005A40: D8EC5D80 96000032
	ds_read_b64 v[152:153], v50 offset:24832                   // 000000005A48: D8EC6100 98000032
	ds_read_b64 v[154:155], v50 offset:24960                   // 000000005A50: D8EC6180 9A000032
	ds_read_b64 v[156:157], v50 offset:25856                   // 000000005A58: D8EC6500 9C000032
	ds_read_b64 v[158:159], v50 offset:25984                   // 000000005A60: D8EC6580 9E000032
	ds_read_b64 v[160:161], v50 offset:26880                   // 000000005A68: D8EC6900 A0000032
	ds_read_b64 v[162:163], v50 offset:27008                   // 000000005A70: D8EC6980 A2000032
	ds_read_b64 v[164:165], v50 offset:27904                   // 000000005A78: D8EC6D00 A4000032
	ds_read_b64 v[166:167], v50 offset:28032                   // 000000005A80: D8EC6D80 A6000032
	ds_read_b64 v[168:169], v50 offset:28928                   // 000000005A88: D8EC7100 A8000032
	ds_read_b64 v[170:171], v50 offset:29056                   // 000000005A90: D8EC7180 AA000032
	ds_read_b64 v[172:173], v50 offset:29952                   // 000000005A98: D8EC7500 AC000032
	ds_read_b64 v[174:175], v50 offset:30080                   // 000000005AA0: D8EC7580 AE000032
	s_add_u32 s12, s56, s12                                    // 000000005AA8: 800C0C38
	s_addc_u32 s13, 0, s13                                     // 000000005AAC: 820D0D80
	s_add_u32 s16, s79, s16                                    // 000000005AB0: 8010104F
	s_addc_u32 s17, 0, s17                                     // 000000005AB4: 82111180
	s_waitcnt lgkmcnt(0)                                       // 000000005AB8: BF8CC07F
	s_barrier                                                  // 000000005ABC: BF8A0000
	v_mov_b32_e32 v176, 0                                      // 000000005AC0: 7F600280
	v_mov_b32_e32 v208, 0                                      // 000000005AC4: 7FA00280
	v_mov_b32_e32 v177, 0                                      // 000000005AC8: 7F620280
	v_mov_b32_e32 v209, 0                                      // 000000005ACC: 7FA20280
	v_mov_b32_e32 v178, 0                                      // 000000005AD0: 7F640280
	v_mov_b32_e32 v210, 0                                      // 000000005AD4: 7FA40280
	v_mov_b32_e32 v179, 0                                      // 000000005AD8: 7F660280
	v_mov_b32_e32 v211, 0                                      // 000000005ADC: 7FA60280
	v_mov_b32_e32 v180, 0                                      // 000000005AE0: 7F680280
	v_mov_b32_e32 v212, 0                                      // 000000005AE4: 7FA80280
	v_mov_b32_e32 v181, 0                                      // 000000005AE8: 7F6A0280
	v_mov_b32_e32 v213, 0                                      // 000000005AEC: 7FAA0280
	v_mov_b32_e32 v182, 0                                      // 000000005AF0: 7F6C0280
	v_mov_b32_e32 v214, 0                                      // 000000005AF4: 7FAC0280
	v_mov_b32_e32 v183, 0                                      // 000000005AF8: 7F6E0280
	v_mov_b32_e32 v215, 0                                      // 000000005AFC: 7FAE0280
	v_mov_b32_e32 v184, 0                                      // 000000005B00: 7F700280
	v_mov_b32_e32 v216, 0                                      // 000000005B04: 7FB00280
	v_mov_b32_e32 v185, 0                                      // 000000005B08: 7F720280
	v_mov_b32_e32 v217, 0                                      // 000000005B0C: 7FB20280
	v_mov_b32_e32 v186, 0                                      // 000000005B10: 7F740280
	v_mov_b32_e32 v218, 0                                      // 000000005B14: 7FB40280
	v_mov_b32_e32 v187, 0                                      // 000000005B18: 7F760280
	v_mov_b32_e32 v219, 0                                      // 000000005B1C: 7FB60280
	v_mov_b32_e32 v188, 0                                      // 000000005B20: 7F780280
	v_mov_b32_e32 v220, 0                                      // 000000005B24: 7FB80280
	v_mov_b32_e32 v189, 0                                      // 000000005B28: 7F7A0280
	v_mov_b32_e32 v221, 0                                      // 000000005B2C: 7FBA0280
	v_mov_b32_e32 v190, 0                                      // 000000005B30: 7F7C0280
	v_mov_b32_e32 v222, 0                                      // 000000005B34: 7FBC0280
	v_mov_b32_e32 v191, 0                                      // 000000005B38: 7F7E0280
	v_mov_b32_e32 v223, 0                                      // 000000005B3C: 7FBE0280
	ds_write_b64 v3, v[176:177] offset:18688                   // 000000005B40: D89A4900 0000B003
	ds_write_b64 v3, v[178:179] offset:27392                   // 000000005B48: D89A6B00 0000B203
	ds_write_b64 v3, v[180:181] offset:20864                   // 000000005B50: D89A5180 0000B403
	ds_write_b64 v3, v[182:183] offset:29568                   // 000000005B58: D89A7380 0000B603
	ds_write_b64 v3, v[184:185] offset:23040                   // 000000005B60: D89A5A00 0000B803
	ds_write_b64 v3, v[186:187] offset:31744                   // 000000005B68: D89A7C00 0000BA03
	ds_write_b64 v3, v[188:189] offset:25216                   // 000000005B70: D89A6280 0000BC03
	ds_write_b64 v3, v[190:191] offset:33920                   // 000000005B78: D89A8480 0000BE03
	s_mov_b32 s80, 0                                           // 000000005B80: BED00080
	s_waitcnt vmcnt(0) expcnt(0) lgkmcnt(0)                    // 000000005B84: BF8C0000

0000000000005b88 <label_0B62>:
	s_waitcnt vmcnt(21) lgkmcnt(0)                             // 000000005B88: BF8C4075
	s_barrier                                                  // 000000005B8C: BF8A0000
	v_mfma_f32_16x16x32_fp8_fp8 v[176:179], a[0:1], v[128:129], 0// 000000005B90: D3F300B0 0A030100
	ds_read_b32 v64, v4 offset:18688                           // 000000005B98: D86C4900 40000004
	ds_read_b32 v65, v4 offset:23040                           // 000000005BA0: D86C5A00 41000004
	v_mfma_f32_16x16x32_fp8_fp8 v[176:179], a[2:3], v[130:131], v[176:179]// 000000005BA8: D3F300B0 0EC30502
	buffer_load_dwordx4 a[96:99], v40, s[12:15], 0 offen       // 000000005BB0: E05C1000 80836028
	v_mfma_f32_16x16x32_fp8_fp8 v[180:183], a[0:1], v[152:153], 0// 000000005BB8: D3F300B4 0A033100
	ds_read_b32 v66, v4 offset:18720                           // 000000005BC0: D86C4920 42000004
	ds_read_b32 v67, v4 offset:23072                           // 000000005BC8: D86C5A20 43000004
	v_mfma_f32_16x16x32_fp8_fp8 v[180:183], a[2:3], v[154:155], v[180:183]// 000000005BD0: D3F300B4 0ED33502
	v_mfma_f32_16x16x32_fp8_fp8 v[184:187], a[4:5], v[128:129], 0// 000000005BD8: D3F300B8 0A030104
	ds_read_b32 v68, v4 offset:18752                           // 000000005BE0: D86C4940 44000004
	ds_read_b32 v69, v4 offset:23104                           // 000000005BE8: D86C5A40 45000004
	v_mfma_f32_16x16x32_fp8_fp8 v[184:187], a[6:7], v[130:131], v[184:187]// 000000005BF0: D3F300B8 0EE30506
	buffer_load_dwordx4 a[100:103], v41, s[12:15], 0 offen     // 000000005BF8: E05C1000 80836429
	v_mfma_f32_16x16x32_fp8_fp8 v[188:191], a[4:5], v[152:153], 0// 000000005C00: D3F300BC 0A033104
	ds_read_b32 v70, v4 offset:18784                           // 000000005C08: D86C4960 46000004
	ds_read_b32 v71, v4 offset:23136                           // 000000005C10: D86C5A60 47000004
	v_mfma_f32_16x16x32_fp8_fp8 v[188:191], a[6:7], v[154:155], v[188:191]// 000000005C18: D3F300BC 0EF33506
	v_mfma_f32_16x16x32_fp8_fp8 v[192:195], a[8:9], v[128:129], 0// 000000005C20: D3F300C0 0A030108
	ds_read_b32 v72, v4 offset:27392                           // 000000005C28: D86C6B00 48000004
	ds_read_b32 v73, v4 offset:31744                           // 000000005C30: D86C7C00 49000004
	v_mfma_f32_16x16x32_fp8_fp8 v[192:195], a[10:11], v[130:131], v[192:195]// 000000005C38: D3F300C0 0F03050A
	buffer_load_dwordx4 a[104:107], v42, s[12:15], 0 offen     // 000000005C40: E05C1000 8083682A
	v_mfma_f32_16x16x32_fp8_fp8 v[196:199], a[8:9], v[152:153], 0// 000000005C48: D3F300C4 0A033108
	ds_read_b32 v74, v4 offset:27424                           // 000000005C50: D86C6B20 4A000004
	ds_read_b32 v75, v4 offset:31776                           // 000000005C58: D86C7C20 4B000004
	v_mfma_f32_16x16x32_fp8_fp8 v[196:199], a[10:11], v[154:155], v[196:199]// 000000005C60: D3F300C4 0F13350A
	v_mfma_f32_16x16x32_fp8_fp8 v[200:203], a[12:13], v[128:129], 0// 000000005C68: D3F300C8 0A03010C
	ds_read_b32 v76, v4 offset:27456                           // 000000005C70: D86C6B40 4C000004
	ds_read_b32 v77, v4 offset:31808                           // 000000005C78: D86C7C40 4D000004
	v_mfma_f32_16x16x32_fp8_fp8 v[200:203], a[14:15], v[130:131], v[200:203]// 000000005C80: D3F300C8 0F23050E
	buffer_load_dwordx4 a[108:111], v43, s[12:15], 0 offen     // 000000005C88: E05C1000 80836C2B
	s_add_u32 s12, s78, s12                                    // 000000005C90: 800C0C4E
	s_addc_u32 s13, 0, s13                                     // 000000005C94: 820D0D80
	v_mfma_f32_16x16x32_fp8_fp8 v[204:207], a[12:13], v[152:153], 0// 000000005C98: D3F300CC 0A03310C
	ds_read_b32 v78, v4 offset:27488                           // 000000005CA0: D86C6B60 4E000004
	ds_read_b32 v79, v4 offset:31840                           // 000000005CA8: D86C7C60 4F000004
	v_mfma_f32_16x16x32_fp8_fp8 v[204:207], a[14:15], v[154:155], v[204:207]// 000000005CB0: D3F300CC 0F33350E
	s_waitcnt vmcnt(21)                                        // 000000005CB8: BF8C4F75
	v_mfma_f32_16x16x32_fp8_fp8 v[176:179], a[16:17], v[132:133], v[176:179]// 000000005CBC: D3F300B0 0EC30910
	v_mfma_f32_16x16x32_fp8_fp8 v[176:179], a[18:19], v[134:135], v[176:179]// 000000005CC4: D3F300B0 0EC30D12
	buffer_load_dwordx4 a[112:115], v40, s[12:15], 0 offen     // 000000005CCC: E05C1000 80837028
	v_mfma_f32_16x16x32_fp8_fp8 v[180:183], a[16:17], v[156:157], v[180:183]// 000000005CD4: D3F300B4 0ED33910
	v_mfma_f32_16x16x32_fp8_fp8 v[180:183], a[18:19], v[158:159], v[180:183]// 000000005CDC: D3F300B4 0ED33D12
	v_mfma_f32_16x16x32_fp8_fp8 v[184:187], a[20:21], v[132:133], v[184:187]// 000000005CE4: D3F300B8 0EE30914
	v_mfma_f32_16x16x32_fp8_fp8 v[184:187], a[22:23], v[134:135], v[184:187]// 000000005CEC: D3F300B8 0EE30D16
	buffer_load_dwordx4 a[116:119], v41, s[12:15], 0 offen     // 000000005CF4: E05C1000 80837429
	v_mfma_f32_16x16x32_fp8_fp8 v[188:191], a[20:21], v[156:157], v[188:191]// 000000005CFC: D3F300BC 0EF33914
	v_mfma_f32_16x16x32_fp8_fp8 v[188:191], a[22:23], v[158:159], v[188:191]// 000000005D04: D3F300BC 0EF33D16
	v_mfma_f32_16x16x32_fp8_fp8 v[192:195], a[24:25], v[132:133], v[192:195]// 000000005D0C: D3F300C0 0F030918
	v_mfma_f32_16x16x32_fp8_fp8 v[192:195], a[26:27], v[134:135], v[192:195]// 000000005D14: D3F300C0 0F030D1A
	buffer_load_dwordx4 a[120:123], v42, s[12:15], 0 offen     // 000000005D1C: E05C1000 8083782A
	v_mfma_f32_16x16x32_fp8_fp8 v[196:199], a[24:25], v[156:157], v[196:199]// 000000005D24: D3F300C4 0F133918
	v_mfma_f32_16x16x32_fp8_fp8 v[196:199], a[26:27], v[158:159], v[196:199]// 000000005D2C: D3F300C4 0F133D1A
	v_mfma_f32_16x16x32_fp8_fp8 v[200:203], a[28:29], v[132:133], v[200:203]// 000000005D34: D3F300C8 0F23091C
	v_mfma_f32_16x16x32_fp8_fp8 v[200:203], a[30:31], v[134:135], v[200:203]// 000000005D3C: D3F300C8 0F230D1E
	buffer_load_dwordx4 a[124:127], v43, s[12:15], 0 offen     // 000000005D44: E05C1000 80837C2B
	s_add_u32 s12, s78, s12                                    // 000000005D4C: 800C0C4E
	s_addc_u32 s13, 0, s13                                     // 000000005D50: 820D0D80
	v_mfma_f32_16x16x32_fp8_fp8 v[204:207], a[28:29], v[156:157], v[204:207]// 000000005D54: D3F300CC 0F33391C
	v_mfma_f32_16x16x32_fp8_fp8 v[204:207], a[30:31], v[158:159], v[204:207]// 000000005D5C: D3F300CC 0F333D1E
	s_waitcnt vmcnt(21)                                        // 000000005D64: BF8C4F75
	v_mfma_f32_16x16x32_fp8_fp8 v[176:179], a[32:33], v[136:137], v[176:179]// 000000005D68: D3F300B0 0EC31120
	ds_write_b64 v3, v[208:209] offset:36096                   // 000000005D70: D89A8D00 0000D003
	v_mfma_f32_16x16x32_fp8_fp8 v[176:179], a[34:35], v[138:139], v[176:179]// 000000005D78: D3F300B0 0EC31522
	buffer_load_dwordx4 a[128:131], v40, s[12:15], 0 offen     // 000000005D80: E05C1000 80838028
	v_mfma_f32_16x16x32_fp8_fp8 v[180:183], a[32:33], v[160:161], v[180:183]// 000000005D88: D3F300B4 0ED34120
	ds_write_b64 v3, v[210:211] offset:44800                   // 000000005D90: D89AAF00 0000D203
	v_mfma_f32_16x16x32_fp8_fp8 v[180:183], a[34:35], v[162:163], v[180:183]// 000000005D98: D3F300B4 0ED34522
	v_mfma_f32_16x16x32_fp8_fp8 v[184:187], a[36:37], v[136:137], v[184:187]// 000000005DA0: D3F300B8 0EE31124
	ds_write_b64 v3, v[212:213] offset:38272                   // 000000005DA8: D89A9580 0000D403
	v_mfma_f32_16x16x32_fp8_fp8 v[184:187], a[38:39], v[138:139], v[184:187]// 000000005DB0: D3F300B8 0EE31526
	buffer_load_dwordx4 a[132:135], v41, s[12:15], 0 offen     // 000000005DB8: E05C1000 80838429
	v_mfma_f32_16x16x32_fp8_fp8 v[188:191], a[36:37], v[160:161], v[188:191]// 000000005DC0: D3F300BC 0EF34124
	ds_write_b64 v3, v[214:215] offset:46976                   // 000000005DC8: D89AB780 0000D603
	v_mfma_f32_16x16x32_fp8_fp8 v[188:191], a[38:39], v[162:163], v[188:191]// 000000005DD0: D3F300BC 0EF34526
	v_mfma_f32_16x16x32_fp8_fp8 v[192:195], a[40:41], v[136:137], v[192:195]// 000000005DD8: D3F300C0 0F031128
	ds_write_b64 v3, v[216:217] offset:40448                   // 000000005DE0: D89A9E00 0000D803
	v_mfma_f32_16x16x32_fp8_fp8 v[192:195], a[42:43], v[138:139], v[192:195]// 000000005DE8: D3F300C0 0F03152A
	buffer_load_dwordx4 a[136:139], v42, s[12:15], 0 offen     // 000000005DF0: E05C1000 8083882A
	v_mfma_f32_16x16x32_fp8_fp8 v[196:199], a[40:41], v[160:161], v[196:199]// 000000005DF8: D3F300C4 0F134128
	ds_write_b64 v3, v[218:219] offset:49152                   // 000000005E00: D89AC000 0000DA03
	v_mfma_f32_16x16x32_fp8_fp8 v[196:199], a[42:43], v[162:163], v[196:199]// 000000005E08: D3F300C4 0F13452A
	v_mfma_f32_16x16x32_fp8_fp8 v[200:203], a[44:45], v[136:137], v[200:203]// 000000005E10: D3F300C8 0F23112C
	ds_write_b64 v3, v[220:221] offset:42624                   // 000000005E18: D89AA680 0000DC03
	v_mfma_f32_16x16x32_fp8_fp8 v[200:203], a[46:47], v[138:139], v[200:203]// 000000005E20: D3F300C8 0F23152E
	buffer_load_dwordx4 a[140:143], v43, s[12:15], 0 offen     // 000000005E28: E05C1000 80838C2B
	s_add_u32 s12, s78, s12                                    // 000000005E30: 800C0C4E
	s_addc_u32 s13, 0, s13                                     // 000000005E34: 820D0D80
	v_mfma_f32_16x16x32_fp8_fp8 v[204:207], a[44:45], v[160:161], v[204:207]// 000000005E38: D3F300CC 0F33412C
	ds_write_b64 v3, v[222:223] offset:51328                   // 000000005E40: D89AC880 0000DE03
	v_mfma_f32_16x16x32_fp8_fp8 v[204:207], a[46:47], v[162:163], v[204:207]// 000000005E48: D3F300CC 0F33452E
	s_waitcnt vmcnt(21)                                        // 000000005E50: BF8C4F75
	v_mfma_f32_16x16x32_fp8_fp8 v[176:179], a[48:49], v[140:141], v[176:179]// 000000005E54: D3F300B0 0EC31930
	v_mfma_f32_16x16x32_fp8_fp8 v[176:179], a[50:51], v[142:143], v[176:179]// 000000005E5C: D3F300B0 0EC31D32
	buffer_load_dwordx4 a[144:147], v40, s[12:15], 0 offen     // 000000005E64: E05C1000 80839028
	v_mfma_f32_16x16x32_fp8_fp8 v[180:183], a[48:49], v[164:165], v[180:183]// 000000005E6C: D3F300B4 0ED34930
	v_mfma_f32_16x16x32_fp8_fp8 v[180:183], a[50:51], v[166:167], v[180:183]// 000000005E74: D3F300B4 0ED34D32
	v_mfma_f32_16x16x32_fp8_fp8 v[184:187], a[52:53], v[140:141], v[184:187]// 000000005E7C: D3F300B8 0EE31934
	v_mfma_f32_16x16x32_fp8_fp8 v[184:187], a[54:55], v[142:143], v[184:187]// 000000005E84: D3F300B8 0EE31D36
	buffer_load_dwordx4 a[148:151], v41, s[12:15], 0 offen     // 000000005E8C: E05C1000 80839429
	v_mfma_f32_16x16x32_fp8_fp8 v[188:191], a[52:53], v[164:165], v[188:191]// 000000005E94: D3F300BC 0EF34934
	v_mfma_f32_16x16x32_fp8_fp8 v[188:191], a[54:55], v[166:167], v[188:191]// 000000005E9C: D3F300BC 0EF34D36
	v_mfma_f32_16x16x32_fp8_fp8 v[192:195], a[56:57], v[140:141], v[192:195]// 000000005EA4: D3F300C0 0F031938
	v_mfma_f32_16x16x32_fp8_fp8 v[192:195], a[58:59], v[142:143], v[192:195]// 000000005EAC: D3F300C0 0F031D3A
	buffer_load_dwordx4 a[152:155], v42, s[12:15], 0 offen     // 000000005EB4: E05C1000 8083982A
	v_mfma_f32_16x16x32_fp8_fp8 v[196:199], a[56:57], v[164:165], v[196:199]// 000000005EBC: D3F300C4 0F134938
	v_mfma_f32_16x16x32_fp8_fp8 v[196:199], a[58:59], v[166:167], v[196:199]// 000000005EC4: D3F300C4 0F134D3A
	v_mfma_f32_16x16x32_fp8_fp8 v[200:203], a[60:61], v[140:141], v[200:203]// 000000005ECC: D3F300C8 0F23193C
	v_mfma_f32_16x16x32_fp8_fp8 v[200:203], a[62:63], v[142:143], v[200:203]// 000000005ED4: D3F300C8 0F231D3E
	buffer_load_dwordx4 a[156:159], v43, s[12:15], 0 offen     // 000000005EDC: E05C1000 80839C2B
	s_add_u32 s12, s78, s12                                    // 000000005EE4: 800C0C4E
	s_addc_u32 s13, 0, s13                                     // 000000005EE8: 820D0D80
	v_mfma_f32_16x16x32_fp8_fp8 v[204:207], a[60:61], v[164:165], v[204:207]// 000000005EEC: D3F300CC 0F33493C
	v_mfma_f32_16x16x32_fp8_fp8 v[204:207], a[62:63], v[166:167], v[204:207]// 000000005EF4: D3F300CC 0F334D3E
	s_waitcnt vmcnt(21)                                        // 000000005EFC: BF8C4F75
	v_mfma_f32_16x16x32_fp8_fp8 v[176:179], a[64:65], v[144:145], v[176:179]// 000000005F00: D3F300B0 0EC32140
	v_mfma_f32_16x16x32_fp8_fp8 v[176:179], a[66:67], v[146:147], v[176:179]// 000000005F08: D3F300B0 0EC32542
	buffer_load_dwordx4 a[160:163], v40, s[12:15], 0 offen     // 000000005F10: E05C1000 8083A028
	v_mfma_f32_16x16x32_fp8_fp8 v[180:183], a[64:65], v[168:169], v[180:183]// 000000005F18: D3F300B4 0ED35140
	v_mfma_f32_16x16x32_fp8_fp8 v[180:183], a[66:67], v[170:171], v[180:183]// 000000005F20: D3F300B4 0ED35542
	v_mfma_f32_16x16x32_fp8_fp8 v[184:187], a[68:69], v[144:145], v[184:187]// 000000005F28: D3F300B8 0EE32144
	v_mfma_f32_16x16x32_fp8_fp8 v[184:187], a[70:71], v[146:147], v[184:187]// 000000005F30: D3F300B8 0EE32546
	buffer_load_dwordx4 a[164:167], v41, s[12:15], 0 offen     // 000000005F38: E05C1000 8083A429
	v_mfma_f32_16x16x32_fp8_fp8 v[188:191], a[68:69], v[168:169], v[188:191]// 000000005F40: D3F300BC 0EF35144
	v_mfma_f32_16x16x32_fp8_fp8 v[188:191], a[70:71], v[170:171], v[188:191]// 000000005F48: D3F300BC 0EF35546
	v_mfma_f32_16x16x32_fp8_fp8 v[192:195], a[72:73], v[144:145], v[192:195]// 000000005F50: D3F300C0 0F032148
	v_mfma_f32_16x16x32_fp8_fp8 v[192:195], a[74:75], v[146:147], v[192:195]// 000000005F58: D3F300C0 0F03254A
	buffer_load_dwordx4 a[168:171], v42, s[12:15], 0 offen     // 000000005F60: E05C1000 8083A82A
	v_mfma_f32_16x16x32_fp8_fp8 v[196:199], a[72:73], v[168:169], v[196:199]// 000000005F68: D3F300C4 0F135148
	v_mfma_f32_16x16x32_fp8_fp8 v[196:199], a[74:75], v[170:171], v[196:199]// 000000005F70: D3F300C4 0F13554A
	v_mfma_f32_16x16x32_fp8_fp8 v[200:203], a[76:77], v[144:145], v[200:203]// 000000005F78: D3F300C8 0F23214C
	v_mfma_f32_16x16x32_fp8_fp8 v[200:203], a[78:79], v[146:147], v[200:203]// 000000005F80: D3F300C8 0F23254E
	buffer_load_dwordx4 a[172:175], v43, s[12:15], 0 offen     // 000000005F88: E05C1000 8083AC2B
	s_add_u32 s12, s78, s12                                    // 000000005F90: 800C0C4E
	s_addc_u32 s13, 0, s13                                     // 000000005F94: 820D0D80
	v_mfma_f32_16x16x32_fp8_fp8 v[204:207], a[76:77], v[168:169], v[204:207]// 000000005F98: D3F300CC 0F33514C
	v_mfma_f32_16x16x32_fp8_fp8 v[204:207], a[78:79], v[170:171], v[204:207]// 000000005FA0: D3F300CC 0F33554E
	s_waitcnt vmcnt(20)                                        // 000000005FA8: BF8C4F74
	v_mfma_f32_16x16x32_fp8_fp8 v[176:179], a[80:81], v[148:149], v[176:179]// 000000005FAC: D3F300B0 0EC32950
	v_mfma_f32_16x16x32_fp8_fp8 v[176:179], a[82:83], v[150:151], v[176:179]// 000000005FB4: D3F300B0 0EC32D52
	buffer_load_dwordx4 a[176:179], v40, s[12:15], 0 offen     // 000000005FBC: E05C1000 8083B028
	v_mfma_f32_16x16x32_fp8_fp8 v[180:183], a[80:81], v[172:173], v[180:183]// 000000005FC4: D3F300B4 0ED35950
	v_mfma_f32_16x16x32_fp8_fp8 v[180:183], a[82:83], v[174:175], v[180:183]// 000000005FCC: D3F300B4 0ED35D52
	buffer_load_dword v13, v5, s[16:19], 0 offen               // 000000005FD4: E0501000 80040D05
	v_mfma_f32_16x16x32_fp8_fp8 v[184:187], a[84:85], v[148:149], v[184:187]// 000000005FDC: D3F300B8 0EE32954
	v_mfma_f32_16x16x32_fp8_fp8 v[184:187], a[86:87], v[150:151], v[184:187]// 000000005FE4: D3F300B8 0EE32D56
	buffer_load_dwordx4 a[180:183], v41, s[12:15], 0 offen     // 000000005FEC: E05C1000 8083B429
	v_mfma_f32_16x16x32_fp8_fp8 v[188:191], a[84:85], v[172:173], v[188:191]// 000000005FF4: D3F300BC 0EF35954
	v_mfma_f32_16x16x32_fp8_fp8 v[188:191], a[86:87], v[174:175], v[188:191]// 000000005FFC: D3F300BC 0EF35D56
	v_mfma_f32_16x16x32_fp8_fp8 v[192:195], a[88:89], v[148:149], v[192:195]// 000000006004: D3F300C0 0F032958
	v_mfma_f32_16x16x32_fp8_fp8 v[192:195], a[90:91], v[150:151], v[192:195]// 00000000600C: D3F300C0 0F032D5A
	buffer_load_dwordx4 a[184:187], v42, s[12:15], 0 offen     // 000000006014: E05C1000 8083B82A
	v_mfma_f32_16x16x32_fp8_fp8 v[196:199], a[88:89], v[172:173], v[196:199]// 00000000601C: D3F300C4 0F135958
	v_mfma_f32_16x16x32_fp8_fp8 v[196:199], a[90:91], v[174:175], v[196:199]// 000000006024: D3F300C4 0F135D5A
	v_mfma_f32_16x16x32_fp8_fp8 v[200:203], a[92:93], v[148:149], v[200:203]// 00000000602C: D3F300C8 0F23295C
	v_mfma_f32_16x16x32_fp8_fp8 v[200:203], a[94:95], v[150:151], v[200:203]// 000000006034: D3F300C8 0F232D5E
	buffer_load_dwordx4 a[188:191], v43, s[12:15], 0 offen     // 00000000603C: E05C1000 8083BC2B
	v_mfma_f32_16x16x32_fp8_fp8 v[204:207], a[92:93], v[172:173], v[204:207]// 000000006044: D3F300CC 0F33595C
	v_mfma_f32_16x16x32_fp8_fp8 v[204:207], a[94:95], v[174:175], v[204:207]// 00000000604C: D3F300CC 0F335D5E
	s_add_u32 s60, 0x200, s80                                  // 000000006054: 803C50FF 00000200
	s_cmp_lt_u32 s60, s81                                      // 00000000605C: BF0A513C
	s_cselect_b32 s56, s56, 0                                  // 000000006060: 85388038
	s_cselect_b32 s78, s78, 0                                  // 000000006064: 854E804E
	s_cselect_b32 s79, s79, 0                                  // 000000006068: 854F804F
	s_add_u32 s12, s56, s12                                    // 00000000606C: 800C0C38
	s_addc_u32 s13, 0, s13                                     // 000000006070: 820D0D80
	s_add_u32 s16, s79, s16                                    // 000000006074: 8010104F
	s_addc_u32 s17, 0, s17                                     // 000000006078: 82111180
	v_mul_f32_e32 v176, v24, v176                              // 00000000607C: 0B616118
	v_mul_f32_e32 v177, v24, v177                              // 000000006080: 0B636318
	v_mul_f32_e32 v178, v24, v178                              // 000000006084: 0B656518
	v_mul_f32_e32 v179, v24, v179                              // 000000006088: 0B676718
	v_mul_f32_dpp v176, v12, v176 row_newbcast:0 row_mask:0xf bank_mask:0xf// 00000000608C: 0B6160FA FF01500C
	v_mul_f32_dpp v177, v12, v177 row_newbcast:1 row_mask:0xf bank_mask:0xf// 000000006094: 0B6362FA FF01510C
	v_mul_f32_dpp v178, v12, v178 row_newbcast:2 row_mask:0xf bank_mask:0xf// 00000000609C: 0B6564FA FF01520C
	v_mul_f32_dpp v179, v12, v179 row_newbcast:3 row_mask:0xf bank_mask:0xf// 0000000060A4: 0B6766FA FF01530C
	v_mul_f32_e32 v176, v20, v176                              // 0000000060AC: 0B616114
	v_mul_f32_e32 v177, v20, v177                              // 0000000060B0: 0B636314
	v_mul_f32_e32 v178, v20, v178                              // 0000000060B4: 0B656514
	v_mul_f32_e32 v179, v20, v179                              // 0000000060B8: 0B676714
	v_mul_f32_e32 v180, v25, v180                              // 0000000060BC: 0B696919
	v_mul_f32_e32 v181, v25, v181                              // 0000000060C0: 0B6B6B19
	v_mul_f32_e32 v182, v25, v182                              // 0000000060C4: 0B6D6D19
	v_mul_f32_e32 v183, v25, v183                              // 0000000060C8: 0B6F6F19
	v_mul_f32_dpp v180, v12, v180 row_newbcast:0 row_mask:0xf bank_mask:0xf// 0000000060CC: 0B6968FA FF01500C
	v_mul_f32_dpp v181, v12, v181 row_newbcast:1 row_mask:0xf bank_mask:0xf// 0000000060D4: 0B6B6AFA FF01510C
	v_mul_f32_dpp v182, v12, v182 row_newbcast:2 row_mask:0xf bank_mask:0xf// 0000000060DC: 0B6D6CFA FF01520C
	v_mul_f32_dpp v183, v12, v183 row_newbcast:3 row_mask:0xf bank_mask:0xf// 0000000060E4: 0B6F6EFA FF01530C
	v_mul_f32_e32 v180, v21, v180                              // 0000000060EC: 0B696915
	v_mul_f32_e32 v181, v21, v181                              // 0000000060F0: 0B6B6B15
	v_mul_f32_e32 v182, v21, v182                              // 0000000060F4: 0B6D6D15
	v_mul_f32_e32 v183, v21, v183                              // 0000000060F8: 0B6F6F15
	v_mul_f32_e32 v184, v24, v184                              // 0000000060FC: 0B717118
	v_mul_f32_e32 v185, v24, v185                              // 000000006100: 0B737318
	v_mul_f32_e32 v186, v24, v186                              // 000000006104: 0B757518
	v_mul_f32_e32 v187, v24, v187                              // 000000006108: 0B777718
	v_mul_f32_dpp v184, v12, v184 row_newbcast:4 row_mask:0xf bank_mask:0xf// 00000000610C: 0B7170FA FF01540C
	v_mul_f32_dpp v185, v12, v185 row_newbcast:5 row_mask:0xf bank_mask:0xf// 000000006114: 0B7372FA FF01550C
	v_mul_f32_dpp v186, v12, v186 row_newbcast:6 row_mask:0xf bank_mask:0xf// 00000000611C: 0B7574FA FF01560C
	v_mul_f32_dpp v187, v12, v187 row_newbcast:7 row_mask:0xf bank_mask:0xf// 000000006124: 0B7776FA FF01570C
	v_mul_f32_e32 v184, v20, v184                              // 00000000612C: 0B717114
	v_mul_f32_e32 v185, v20, v185                              // 000000006130: 0B737314
	v_mul_f32_e32 v186, v20, v186                              // 000000006134: 0B757514
	v_mul_f32_e32 v187, v20, v187                              // 000000006138: 0B777714
	v_mul_f32_e32 v188, v25, v188                              // 00000000613C: 0B797919
	v_mul_f32_e32 v189, v25, v189                              // 000000006140: 0B7B7B19
	v_mul_f32_e32 v190, v25, v190                              // 000000006144: 0B7D7D19
	v_mul_f32_e32 v191, v25, v191                              // 000000006148: 0B7F7F19
	v_mul_f32_dpp v188, v12, v188 row_newbcast:4 row_mask:0xf bank_mask:0xf// 00000000614C: 0B7978FA FF01540C
	v_mul_f32_dpp v189, v12, v189 row_newbcast:5 row_mask:0xf bank_mask:0xf// 000000006154: 0B7B7AFA FF01550C
	v_mul_f32_dpp v190, v12, v190 row_newbcast:6 row_mask:0xf bank_mask:0xf// 00000000615C: 0B7D7CFA FF01560C
	v_mul_f32_dpp v191, v12, v191 row_newbcast:7 row_mask:0xf bank_mask:0xf// 000000006164: 0B7F7EFA FF01570C
	v_mul_f32_e32 v188, v21, v188                              // 00000000616C: 0B797915
	v_mul_f32_e32 v189, v21, v189                              // 000000006170: 0B7B7B15
	v_mul_f32_e32 v190, v21, v190                              // 000000006174: 0B7D7D15
	v_mul_f32_e32 v191, v21, v191                              // 000000006178: 0B7F7F15
	v_mul_f32_e32 v192, v24, v192                              // 00000000617C: 0B818118
	v_mul_f32_e32 v193, v24, v193                              // 000000006180: 0B838318
	v_mul_f32_e32 v194, v24, v194                              // 000000006184: 0B858518
	v_mul_f32_e32 v195, v24, v195                              // 000000006188: 0B878718
	v_mul_f32_dpp v192, v12, v192 row_newbcast:8 row_mask:0xf bank_mask:0xf// 00000000618C: 0B8180FA FF01580C
	v_mul_f32_dpp v193, v12, v193 row_newbcast:9 row_mask:0xf bank_mask:0xf// 000000006194: 0B8382FA FF01590C
	v_mul_f32_dpp v194, v12, v194 row_newbcast:10 row_mask:0xf bank_mask:0xf// 00000000619C: 0B8584FA FF015A0C
	v_mul_f32_dpp v195, v12, v195 row_newbcast:11 row_mask:0xf bank_mask:0xf// 0000000061A4: 0B8786FA FF015B0C
	v_mul_f32_e32 v192, v20, v192                              // 0000000061AC: 0B818114
	v_mul_f32_e32 v193, v20, v193                              // 0000000061B0: 0B838314
	v_mul_f32_e32 v194, v20, v194                              // 0000000061B4: 0B858514
	v_mul_f32_e32 v195, v20, v195                              // 0000000061B8: 0B878714
	v_mul_f32_e32 v196, v25, v196                              // 0000000061BC: 0B898919
	v_mul_f32_e32 v197, v25, v197                              // 0000000061C0: 0B8B8B19
	v_mul_f32_e32 v198, v25, v198                              // 0000000061C4: 0B8D8D19
	v_mul_f32_e32 v199, v25, v199                              // 0000000061C8: 0B8F8F19
	v_mul_f32_dpp v196, v12, v196 row_newbcast:8 row_mask:0xf bank_mask:0xf// 0000000061CC: 0B8988FA FF01580C
	v_mul_f32_dpp v197, v12, v197 row_newbcast:9 row_mask:0xf bank_mask:0xf// 0000000061D4: 0B8B8AFA FF01590C
	v_mul_f32_dpp v198, v12, v198 row_newbcast:10 row_mask:0xf bank_mask:0xf// 0000000061DC: 0B8D8CFA FF015A0C
	v_mul_f32_dpp v199, v12, v199 row_newbcast:11 row_mask:0xf bank_mask:0xf// 0000000061E4: 0B8F8EFA FF015B0C
	v_mul_f32_e32 v196, v21, v196                              // 0000000061EC: 0B898915
	v_mul_f32_e32 v197, v21, v197                              // 0000000061F0: 0B8B8B15
	v_mul_f32_e32 v198, v21, v198                              // 0000000061F4: 0B8D8D15
	v_mul_f32_e32 v199, v21, v199                              // 0000000061F8: 0B8F8F15
	v_mul_f32_e32 v200, v24, v200                              // 0000000061FC: 0B919118
	v_mul_f32_e32 v201, v24, v201                              // 000000006200: 0B939318
	v_mul_f32_e32 v202, v24, v202                              // 000000006204: 0B959518
	v_mul_f32_e32 v203, v24, v203                              // 000000006208: 0B979718
	v_mul_f32_dpp v200, v12, v200 row_newbcast:12 row_mask:0xf bank_mask:0xf// 00000000620C: 0B9190FA FF015C0C
	v_mul_f32_dpp v201, v12, v201 row_newbcast:13 row_mask:0xf bank_mask:0xf// 000000006214: 0B9392FA FF015D0C
	v_mul_f32_dpp v202, v12, v202 row_newbcast:14 row_mask:0xf bank_mask:0xf// 00000000621C: 0B9594FA FF015E0C
	v_mul_f32_dpp v203, v12, v203 row_newbcast:15 row_mask:0xf bank_mask:0xf// 000000006224: 0B9796FA FF015F0C
	v_mul_f32_e32 v200, v20, v200                              // 00000000622C: 0B919114
	v_mul_f32_e32 v201, v20, v201                              // 000000006230: 0B939314
	v_mul_f32_e32 v202, v20, v202                              // 000000006234: 0B959514
	v_mul_f32_e32 v203, v20, v203                              // 000000006238: 0B979714
	v_mul_f32_e32 v204, v25, v204                              // 00000000623C: 0B999919
	v_mul_f32_e32 v205, v25, v205                              // 000000006240: 0B9B9B19
	v_mul_f32_e32 v206, v25, v206                              // 000000006244: 0B9D9D19
	v_mul_f32_e32 v207, v25, v207                              // 000000006248: 0B9F9F19
	v_mul_f32_dpp v204, v12, v204 row_newbcast:12 row_mask:0xf bank_mask:0xf// 00000000624C: 0B9998FA FF015C0C
	v_mul_f32_dpp v205, v12, v205 row_newbcast:13 row_mask:0xf bank_mask:0xf// 000000006254: 0B9B9AFA FF015D0C
	v_mul_f32_dpp v206, v12, v206 row_newbcast:14 row_mask:0xf bank_mask:0xf// 00000000625C: 0B9D9CFA FF015E0C
	v_mul_f32_dpp v207, v12, v207 row_newbcast:15 row_mask:0xf bank_mask:0xf// 000000006264: 0B9F9EFA FF015F0C
	v_mul_f32_e32 v204, v21, v204                              // 00000000626C: 0B999915
	v_mul_f32_e32 v205, v21, v205                              // 000000006270: 0B9B9B15
	v_mul_f32_e32 v206, v21, v206                              // 000000006274: 0B9D9D15
	v_mul_f32_e32 v207, v21, v207                              // 000000006278: 0B9F9F15
	v_cvt_pkrtz_f16_f32 v176, v176, v177                       // 00000000627C: D29600B0 000363B0
	v_cvt_pkrtz_f16_f32 v177, v178, v179                       // 000000006284: D29600B1 000367B2
	v_cvt_pkrtz_f16_f32 v178, v180, v181                       // 00000000628C: D29600B2 00036BB4
	v_cvt_pkrtz_f16_f32 v179, v182, v183                       // 000000006294: D29600B3 00036FB6
	v_cvt_pkrtz_f16_f32 v180, v184, v185                       // 00000000629C: D29600B4 000373B8
	v_cvt_pkrtz_f16_f32 v181, v186, v187                       // 0000000062A4: D29600B5 000377BA
	v_cvt_pkrtz_f16_f32 v182, v188, v189                       // 0000000062AC: D29600B6 00037BBC
	v_cvt_pkrtz_f16_f32 v183, v190, v191                       // 0000000062B4: D29600B7 00037FBE
	v_cvt_pkrtz_f16_f32 v184, v192, v193                       // 0000000062BC: D29600B8 000383C0
	v_cvt_pkrtz_f16_f32 v185, v194, v195                       // 0000000062C4: D29600B9 000387C2
	v_cvt_pkrtz_f16_f32 v186, v196, v197                       // 0000000062CC: D29600BA 00038BC4
	v_cvt_pkrtz_f16_f32 v187, v198, v199                       // 0000000062D4: D29600BB 00038FC6
	v_cvt_pkrtz_f16_f32 v188, v200, v201                       // 0000000062DC: D29600BC 000393C8
	v_cvt_pkrtz_f16_f32 v189, v202, v203                       // 0000000062E4: D29600BD 000397CA
	v_cvt_pkrtz_f16_f32 v190, v204, v205                       // 0000000062EC: D29600BE 00039BCC
	v_cvt_pkrtz_f16_f32 v191, v206, v207                       // 0000000062F4: D29600BF 00039FCE
	s_cmp_ge_u32 s80, 0x200                                    // 0000000062FC: BF09FF50 00000200
	s_cselect_b32 s59, 0x200, s59                              // 000000006304: 853B3BFF 00000200
	s_setvskip s20, 0                                          // 00000000630C: BF108014
	global_atomic_pk_add_f16 v80, v64, s[8:9]                  // 000000006310: DD388000 00084050
	s_setvskip 0, 0                                            // 000000006318: BF108080
	s_setvskip s20, 0                                          // 00000000631C: BF108014
	global_atomic_pk_add_f16 v80, v65, s[8:9] offset:256       // 000000006320: DD388100 00084150
	s_setvskip 0, 0                                            // 000000006328: BF108080
	s_setvskip s20, 1                                          // 00000000632C: BF108114
	global_atomic_pk_add_f16 v82, v66, s[8:9]                  // 000000006330: DD388000 00084252
	s_setvskip 0, 0                                            // 000000006338: BF108080
	s_setvskip s20, 1                                          // 00000000633C: BF108114
	global_atomic_pk_add_f16 v82, v67, s[8:9] offset:256       // 000000006340: DD388100 00084352
	s_setvskip 0, 0                                            // 000000006348: BF108080
	s_setvskip s20, 2                                          // 00000000634C: BF108214
	global_atomic_pk_add_f16 v84, v68, s[8:9]                  // 000000006350: DD388000 00084454
	s_setvskip 0, 0                                            // 000000006358: BF108080
	s_setvskip s20, 2                                          // 00000000635C: BF108214
	global_atomic_pk_add_f16 v84, v69, s[8:9] offset:256       // 000000006360: DD388100 00084554
	s_setvskip 0, 0                                            // 000000006368: BF108080
	s_setvskip s20, 3                                          // 00000000636C: BF108314
	global_atomic_pk_add_f16 v86, v70, s[8:9]                  // 000000006370: DD388000 00084656
	s_setvskip 0, 0                                            // 000000006378: BF108080
	s_setvskip s20, 3                                          // 00000000637C: BF108314
	global_atomic_pk_add_f16 v86, v71, s[8:9] offset:256       // 000000006380: DD388100 00084756
	s_setvskip 0, 0                                            // 000000006388: BF108080
	s_setvskip s20, 4                                          // 00000000638C: BF108414
	global_atomic_pk_add_f16 v88, v72, s[8:9]                  // 000000006390: DD388000 00084858
	s_setvskip 0, 0                                            // 000000006398: BF108080
	s_setvskip s20, 4                                          // 00000000639C: BF108414
	global_atomic_pk_add_f16 v88, v73, s[8:9] offset:256       // 0000000063A0: DD388100 00084958
	s_setvskip 0, 0                                            // 0000000063A8: BF108080
	s_setvskip s20, 5                                          // 0000000063AC: BF108514
	global_atomic_pk_add_f16 v90, v74, s[8:9]                  // 0000000063B0: DD388000 00084A5A
	s_setvskip 0, 0                                            // 0000000063B8: BF108080
	s_setvskip s20, 5                                          // 0000000063BC: BF108514
	global_atomic_pk_add_f16 v90, v75, s[8:9] offset:256       // 0000000063C0: DD388100 00084B5A
	s_setvskip 0, 0                                            // 0000000063C8: BF108080
	s_setvskip s20, 6                                          // 0000000063CC: BF108614
	global_atomic_pk_add_f16 v92, v76, s[8:9]                  // 0000000063D0: DD388000 00084C5C
	s_setvskip 0, 0                                            // 0000000063D8: BF108080
	s_setvskip s20, 6                                          // 0000000063DC: BF108614
	global_atomic_pk_add_f16 v92, v77, s[8:9] offset:256       // 0000000063E0: DD388100 00084D5C
	s_setvskip 0, 0                                            // 0000000063E8: BF108080
	s_setvskip s20, 7                                          // 0000000063EC: BF108714
	global_atomic_pk_add_f16 v94, v78, s[8:9]                  // 0000000063F0: DD388000 00084E5E
	s_setvskip 0, 0                                            // 0000000063F8: BF108080
	s_setvskip s20, 7                                          // 0000000063FC: BF108714
	global_atomic_pk_add_f16 v94, v79, s[8:9] offset:256       // 000000006400: DD388100 00084F5E
	s_setvskip 0, 0                                            // 000000006408: BF108080
	s_add_u32 s8, s59, s8                                      // 00000000640C: 8008083B
	s_addc_u32 s9, 0, s9                                       // 000000006410: 82090980
	s_addk_i32 s80, 0x100                                      // 000000006414: B7500100
	s_cmp_lt_i32 s80, s81                                      // 000000006418: BF045150
	s_cbranch_scc0 label_0FAF                                  // 00000000641C: BF840227
	s_waitcnt vmcnt(21) lgkmcnt(0)                             // 000000006420: BF8C4075
	s_barrier                                                  // 000000006424: BF8A0000
	v_mfma_f32_16x16x32_fp8_fp8 v[208:211], a[96:97], v[128:129], 0// 000000006428: D3F300D0 0A030160
	ds_read_b32 v64, v4 offset:36096                           // 000000006430: D86C8D00 40000004
	ds_read_b32 v65, v4 offset:40448                           // 000000006438: D86C9E00 41000004
	v_mfma_f32_16x16x32_fp8_fp8 v[208:211], a[98:99], v[130:131], v[208:211]// 000000006440: D3F300D0 0F430562
	buffer_load_dwordx4 a[0:3], v40, s[12:15], 0 offen         // 000000006448: E05C1000 80830028
	v_mfma_f32_16x16x32_fp8_fp8 v[212:215], a[96:97], v[152:153], 0// 000000006450: D3F300D4 0A033160
	ds_read_b32 v66, v4 offset:36128                           // 000000006458: D86C8D20 42000004
	ds_read_b32 v67, v4 offset:40480                           // 000000006460: D86C9E20 43000004
	v_mfma_f32_16x16x32_fp8_fp8 v[212:215], a[98:99], v[154:155], v[212:215]// 000000006468: D3F300D4 0F533562
	v_mfma_f32_16x16x32_fp8_fp8 v[216:219], a[100:101], v[128:129], 0// 000000006470: D3F300D8 0A030164
	ds_read_b32 v68, v4 offset:36160                           // 000000006478: D86C8D40 44000004
	ds_read_b32 v69, v4 offset:40512                           // 000000006480: D86C9E40 45000004
	v_mfma_f32_16x16x32_fp8_fp8 v[216:219], a[102:103], v[130:131], v[216:219]// 000000006488: D3F300D8 0F630566
	buffer_load_dwordx4 a[4:7], v41, s[12:15], 0 offen         // 000000006490: E05C1000 80830429
	v_mfma_f32_16x16x32_fp8_fp8 v[220:223], a[100:101], v[152:153], 0// 000000006498: D3F300DC 0A033164
	ds_read_b32 v70, v4 offset:36192                           // 0000000064A0: D86C8D60 46000004
	ds_read_b32 v71, v4 offset:40544                           // 0000000064A8: D86C9E60 47000004
	v_mfma_f32_16x16x32_fp8_fp8 v[220:223], a[102:103], v[154:155], v[220:223]// 0000000064B0: D3F300DC 0F733566
	v_mfma_f32_16x16x32_fp8_fp8 v[224:227], a[104:105], v[128:129], 0// 0000000064B8: D3F300E0 0A030168
	ds_read_b32 v72, v4 offset:44800                           // 0000000064C0: D86CAF00 48000004
	ds_read_b32 v73, v4 offset:49152                           // 0000000064C8: D86CC000 49000004
	v_mfma_f32_16x16x32_fp8_fp8 v[224:227], a[106:107], v[130:131], v[224:227]// 0000000064D0: D3F300E0 0F83056A
	buffer_load_dwordx4 a[8:11], v42, s[12:15], 0 offen        // 0000000064D8: E05C1000 8083082A
	v_mfma_f32_16x16x32_fp8_fp8 v[228:231], a[104:105], v[152:153], 0// 0000000064E0: D3F300E4 0A033168
	ds_read_b32 v74, v4 offset:44832                           // 0000000064E8: D86CAF20 4A000004
	ds_read_b32 v75, v4 offset:49184                           // 0000000064F0: D86CC020 4B000004
	v_mfma_f32_16x16x32_fp8_fp8 v[228:231], a[106:107], v[154:155], v[228:231]// 0000000064F8: D3F300E4 0F93356A
	v_mfma_f32_16x16x32_fp8_fp8 v[232:235], a[108:109], v[128:129], 0// 000000006500: D3F300E8 0A03016C
	ds_read_b32 v76, v4 offset:44864                           // 000000006508: D86CAF40 4C000004
	ds_read_b32 v77, v4 offset:49216                           // 000000006510: D86CC040 4D000004
	v_mfma_f32_16x16x32_fp8_fp8 v[232:235], a[110:111], v[130:131], v[232:235]// 000000006518: D3F300E8 0FA3056E
	buffer_load_dwordx4 a[12:15], v43, s[12:15], 0 offen       // 000000006520: E05C1000 80830C2B
	s_add_u32 s12, s78, s12                                    // 000000006528: 800C0C4E
	s_addc_u32 s13, 0, s13                                     // 00000000652C: 820D0D80
	v_mfma_f32_16x16x32_fp8_fp8 v[236:239], a[108:109], v[152:153], 0// 000000006530: D3F300EC 0A03316C
	ds_read_b32 v78, v4 offset:44896                           // 000000006538: D86CAF60 4E000004
	ds_read_b32 v79, v4 offset:49248                           // 000000006540: D86CC060 4F000004
	v_mfma_f32_16x16x32_fp8_fp8 v[236:239], a[110:111], v[154:155], v[236:239]// 000000006548: D3F300EC 0FB3356E
	s_waitcnt vmcnt(21)                                        // 000000006550: BF8C4F75
	v_mfma_f32_16x16x32_fp8_fp8 v[208:211], a[112:113], v[132:133], v[208:211]// 000000006554: D3F300D0 0F430970
	v_mfma_f32_16x16x32_fp8_fp8 v[208:211], a[114:115], v[134:135], v[208:211]// 00000000655C: D3F300D0 0F430D72
	buffer_load_dwordx4 a[16:19], v40, s[12:15], 0 offen       // 000000006564: E05C1000 80831028
	v_mfma_f32_16x16x32_fp8_fp8 v[212:215], a[112:113], v[156:157], v[212:215]// 00000000656C: D3F300D4 0F533970
	v_mfma_f32_16x16x32_fp8_fp8 v[212:215], a[114:115], v[158:159], v[212:215]// 000000006574: D3F300D4 0F533D72
	v_mfma_f32_16x16x32_fp8_fp8 v[216:219], a[116:117], v[132:133], v[216:219]// 00000000657C: D3F300D8 0F630974
	v_mfma_f32_16x16x32_fp8_fp8 v[216:219], a[118:119], v[134:135], v[216:219]// 000000006584: D3F300D8 0F630D76
	buffer_load_dwordx4 a[20:23], v41, s[12:15], 0 offen       // 00000000658C: E05C1000 80831429
	v_mfma_f32_16x16x32_fp8_fp8 v[220:223], a[116:117], v[156:157], v[220:223]// 000000006594: D3F300DC 0F733974
	v_mfma_f32_16x16x32_fp8_fp8 v[220:223], a[118:119], v[158:159], v[220:223]// 00000000659C: D3F300DC 0F733D76
	v_mfma_f32_16x16x32_fp8_fp8 v[224:227], a[120:121], v[132:133], v[224:227]// 0000000065A4: D3F300E0 0F830978
	v_mfma_f32_16x16x32_fp8_fp8 v[224:227], a[122:123], v[134:135], v[224:227]// 0000000065AC: D3F300E0 0F830D7A
	buffer_load_dwordx4 a[24:27], v42, s[12:15], 0 offen       // 0000000065B4: E05C1000 8083182A
	v_mfma_f32_16x16x32_fp8_fp8 v[228:231], a[120:121], v[156:157], v[228:231]// 0000000065BC: D3F300E4 0F933978
	v_mfma_f32_16x16x32_fp8_fp8 v[228:231], a[122:123], v[158:159], v[228:231]// 0000000065C4: D3F300E4 0F933D7A
	v_mfma_f32_16x16x32_fp8_fp8 v[232:235], a[124:125], v[132:133], v[232:235]// 0000000065CC: D3F300E8 0FA3097C
	v_mfma_f32_16x16x32_fp8_fp8 v[232:235], a[126:127], v[134:135], v[232:235]// 0000000065D4: D3F300E8 0FA30D7E
	buffer_load_dwordx4 a[28:31], v43, s[12:15], 0 offen       // 0000000065DC: E05C1000 80831C2B
	s_add_u32 s12, s78, s12                                    // 0000000065E4: 800C0C4E
	s_addc_u32 s13, 0, s13                                     // 0000000065E8: 820D0D80
	v_mfma_f32_16x16x32_fp8_fp8 v[236:239], a[124:125], v[156:157], v[236:239]// 0000000065EC: D3F300EC 0FB3397C
	v_mfma_f32_16x16x32_fp8_fp8 v[236:239], a[126:127], v[158:159], v[236:239]// 0000000065F4: D3F300EC 0FB33D7E
	s_waitcnt vmcnt(21)                                        // 0000000065FC: BF8C4F75
	v_mfma_f32_16x16x32_fp8_fp8 v[208:211], a[128:129], v[136:137], v[208:211]// 000000006600: D3F300D0 0F431180
	ds_write_b64 v3, v[176:177] offset:18688                   // 000000006608: D89A4900 0000B003
	v_mfma_f32_16x16x32_fp8_fp8 v[208:211], a[130:131], v[138:139], v[208:211]// 000000006610: D3F300D0 0F431582
	buffer_load_dwordx4 a[32:35], v40, s[12:15], 0 offen       // 000000006618: E05C1000 80832028
	v_mfma_f32_16x16x32_fp8_fp8 v[212:215], a[128:129], v[160:161], v[212:215]// 000000006620: D3F300D4 0F534180
	ds_write_b64 v3, v[178:179] offset:27392                   // 000000006628: D89A6B00 0000B203
	v_mfma_f32_16x16x32_fp8_fp8 v[212:215], a[130:131], v[162:163], v[212:215]// 000000006630: D3F300D4 0F534582
	v_mfma_f32_16x16x32_fp8_fp8 v[216:219], a[132:133], v[136:137], v[216:219]// 000000006638: D3F300D8 0F631184
	ds_write_b64 v3, v[180:181] offset:20864                   // 000000006640: D89A5180 0000B403
	v_mfma_f32_16x16x32_fp8_fp8 v[216:219], a[134:135], v[138:139], v[216:219]// 000000006648: D3F300D8 0F631586
	buffer_load_dwordx4 a[36:39], v41, s[12:15], 0 offen       // 000000006650: E05C1000 80832429
	v_mfma_f32_16x16x32_fp8_fp8 v[220:223], a[132:133], v[160:161], v[220:223]// 000000006658: D3F300DC 0F734184
	ds_write_b64 v3, v[182:183] offset:29568                   // 000000006660: D89A7380 0000B603
	v_mfma_f32_16x16x32_fp8_fp8 v[220:223], a[134:135], v[162:163], v[220:223]// 000000006668: D3F300DC 0F734586
	v_mfma_f32_16x16x32_fp8_fp8 v[224:227], a[136:137], v[136:137], v[224:227]// 000000006670: D3F300E0 0F831188
	ds_write_b64 v3, v[184:185] offset:23040                   // 000000006678: D89A5A00 0000B803
	v_mfma_f32_16x16x32_fp8_fp8 v[224:227], a[138:139], v[138:139], v[224:227]// 000000006680: D3F300E0 0F83158A
	buffer_load_dwordx4 a[40:43], v42, s[12:15], 0 offen       // 000000006688: E05C1000 8083282A
	v_mfma_f32_16x16x32_fp8_fp8 v[228:231], a[136:137], v[160:161], v[228:231]// 000000006690: D3F300E4 0F934188
	ds_write_b64 v3, v[186:187] offset:31744                   // 000000006698: D89A7C00 0000BA03
	v_mfma_f32_16x16x32_fp8_fp8 v[228:231], a[138:139], v[162:163], v[228:231]// 0000000066A0: D3F300E4 0F93458A
	v_mfma_f32_16x16x32_fp8_fp8 v[232:235], a[140:141], v[136:137], v[232:235]// 0000000066A8: D3F300E8 0FA3118C
	ds_write_b64 v3, v[188:189] offset:25216                   // 0000000066B0: D89A6280 0000BC03
	v_mfma_f32_16x16x32_fp8_fp8 v[232:235], a[142:143], v[138:139], v[232:235]// 0000000066B8: D3F300E8 0FA3158E
	buffer_load_dwordx4 a[44:47], v43, s[12:15], 0 offen       // 0000000066C0: E05C1000 80832C2B
	s_add_u32 s12, s78, s12                                    // 0000000066C8: 800C0C4E
	s_addc_u32 s13, 0, s13                                     // 0000000066CC: 820D0D80
	v_mfma_f32_16x16x32_fp8_fp8 v[236:239], a[140:141], v[160:161], v[236:239]// 0000000066D0: D3F300EC 0FB3418C
	ds_write_b64 v3, v[190:191] offset:33920                   // 0000000066D8: D89A8480 0000BE03
	v_mfma_f32_16x16x32_fp8_fp8 v[236:239], a[142:143], v[162:163], v[236:239]// 0000000066E0: D3F300EC 0FB3458E
	s_waitcnt vmcnt(21)                                        // 0000000066E8: BF8C4F75
	v_mfma_f32_16x16x32_fp8_fp8 v[208:211], a[144:145], v[140:141], v[208:211]// 0000000066EC: D3F300D0 0F431990
	v_mfma_f32_16x16x32_fp8_fp8 v[208:211], a[146:147], v[142:143], v[208:211]// 0000000066F4: D3F300D0 0F431D92
	buffer_load_dwordx4 a[48:51], v40, s[12:15], 0 offen       // 0000000066FC: E05C1000 80833028
	v_mfma_f32_16x16x32_fp8_fp8 v[212:215], a[144:145], v[164:165], v[212:215]// 000000006704: D3F300D4 0F534990
	v_mfma_f32_16x16x32_fp8_fp8 v[212:215], a[146:147], v[166:167], v[212:215]// 00000000670C: D3F300D4 0F534D92
	v_mfma_f32_16x16x32_fp8_fp8 v[216:219], a[148:149], v[140:141], v[216:219]// 000000006714: D3F300D8 0F631994
	v_mfma_f32_16x16x32_fp8_fp8 v[216:219], a[150:151], v[142:143], v[216:219]// 00000000671C: D3F300D8 0F631D96
	buffer_load_dwordx4 a[52:55], v41, s[12:15], 0 offen       // 000000006724: E05C1000 80833429
	v_mfma_f32_16x16x32_fp8_fp8 v[220:223], a[148:149], v[164:165], v[220:223]// 00000000672C: D3F300DC 0F734994
	v_mfma_f32_16x16x32_fp8_fp8 v[220:223], a[150:151], v[166:167], v[220:223]// 000000006734: D3F300DC 0F734D96
	v_mfma_f32_16x16x32_fp8_fp8 v[224:227], a[152:153], v[140:141], v[224:227]// 00000000673C: D3F300E0 0F831998
	v_mfma_f32_16x16x32_fp8_fp8 v[224:227], a[154:155], v[142:143], v[224:227]// 000000006744: D3F300E0 0F831D9A
	buffer_load_dwordx4 a[56:59], v42, s[12:15], 0 offen       // 00000000674C: E05C1000 8083382A
	v_mfma_f32_16x16x32_fp8_fp8 v[228:231], a[152:153], v[164:165], v[228:231]// 000000006754: D3F300E4 0F934998
	v_mfma_f32_16x16x32_fp8_fp8 v[228:231], a[154:155], v[166:167], v[228:231]// 00000000675C: D3F300E4 0F934D9A
	v_mfma_f32_16x16x32_fp8_fp8 v[232:235], a[156:157], v[140:141], v[232:235]// 000000006764: D3F300E8 0FA3199C
	v_mfma_f32_16x16x32_fp8_fp8 v[232:235], a[158:159], v[142:143], v[232:235]// 00000000676C: D3F300E8 0FA31D9E
	buffer_load_dwordx4 a[60:63], v43, s[12:15], 0 offen       // 000000006774: E05C1000 80833C2B
	s_add_u32 s12, s78, s12                                    // 00000000677C: 800C0C4E
	s_addc_u32 s13, 0, s13                                     // 000000006780: 820D0D80
	v_mfma_f32_16x16x32_fp8_fp8 v[236:239], a[156:157], v[164:165], v[236:239]// 000000006784: D3F300EC 0FB3499C
	v_mfma_f32_16x16x32_fp8_fp8 v[236:239], a[158:159], v[166:167], v[236:239]// 00000000678C: D3F300EC 0FB34D9E
	s_waitcnt vmcnt(21)                                        // 000000006794: BF8C4F75
	v_mfma_f32_16x16x32_fp8_fp8 v[208:211], a[160:161], v[144:145], v[208:211]// 000000006798: D3F300D0 0F4321A0
	v_mfma_f32_16x16x32_fp8_fp8 v[208:211], a[162:163], v[146:147], v[208:211]// 0000000067A0: D3F300D0 0F4325A2
	buffer_load_dwordx4 a[64:67], v40, s[12:15], 0 offen       // 0000000067A8: E05C1000 80834028
	v_mfma_f32_16x16x32_fp8_fp8 v[212:215], a[160:161], v[168:169], v[212:215]// 0000000067B0: D3F300D4 0F5351A0
	v_mfma_f32_16x16x32_fp8_fp8 v[212:215], a[162:163], v[170:171], v[212:215]// 0000000067B8: D3F300D4 0F5355A2
	v_mfma_f32_16x16x32_fp8_fp8 v[216:219], a[164:165], v[144:145], v[216:219]// 0000000067C0: D3F300D8 0F6321A4
	v_mfma_f32_16x16x32_fp8_fp8 v[216:219], a[166:167], v[146:147], v[216:219]// 0000000067C8: D3F300D8 0F6325A6
	buffer_load_dwordx4 a[68:71], v41, s[12:15], 0 offen       // 0000000067D0: E05C1000 80834429
	v_mfma_f32_16x16x32_fp8_fp8 v[220:223], a[164:165], v[168:169], v[220:223]// 0000000067D8: D3F300DC 0F7351A4
	v_mfma_f32_16x16x32_fp8_fp8 v[220:223], a[166:167], v[170:171], v[220:223]// 0000000067E0: D3F300DC 0F7355A6
	v_mfma_f32_16x16x32_fp8_fp8 v[224:227], a[168:169], v[144:145], v[224:227]// 0000000067E8: D3F300E0 0F8321A8
	v_mfma_f32_16x16x32_fp8_fp8 v[224:227], a[170:171], v[146:147], v[224:227]// 0000000067F0: D3F300E0 0F8325AA
	buffer_load_dwordx4 a[72:75], v42, s[12:15], 0 offen       // 0000000067F8: E05C1000 8083482A
	v_mfma_f32_16x16x32_fp8_fp8 v[228:231], a[168:169], v[168:169], v[228:231]// 000000006800: D3F300E4 0F9351A8
	v_mfma_f32_16x16x32_fp8_fp8 v[228:231], a[170:171], v[170:171], v[228:231]// 000000006808: D3F300E4 0F9355AA
	v_mfma_f32_16x16x32_fp8_fp8 v[232:235], a[172:173], v[144:145], v[232:235]// 000000006810: D3F300E8 0FA321AC
	v_mfma_f32_16x16x32_fp8_fp8 v[232:235], a[174:175], v[146:147], v[232:235]// 000000006818: D3F300E8 0FA325AE
	buffer_load_dwordx4 a[76:79], v43, s[12:15], 0 offen       // 000000006820: E05C1000 80834C2B
	s_add_u32 s12, s78, s12                                    // 000000006828: 800C0C4E
	s_addc_u32 s13, 0, s13                                     // 00000000682C: 820D0D80
	v_mfma_f32_16x16x32_fp8_fp8 v[236:239], a[172:173], v[168:169], v[236:239]// 000000006830: D3F300EC 0FB351AC
	v_mfma_f32_16x16x32_fp8_fp8 v[236:239], a[174:175], v[170:171], v[236:239]// 000000006838: D3F300EC 0FB355AE
	s_waitcnt vmcnt(20)                                        // 000000006840: BF8C4F74
	v_mfma_f32_16x16x32_fp8_fp8 v[208:211], a[176:177], v[148:149], v[208:211]// 000000006844: D3F300D0 0F4329B0
	v_mfma_f32_16x16x32_fp8_fp8 v[208:211], a[178:179], v[150:151], v[208:211]// 00000000684C: D3F300D0 0F432DB2
	buffer_load_dwordx4 a[80:83], v40, s[12:15], 0 offen       // 000000006854: E05C1000 80835028
	v_mfma_f32_16x16x32_fp8_fp8 v[212:215], a[176:177], v[172:173], v[212:215]// 00000000685C: D3F300D4 0F5359B0
	v_mfma_f32_16x16x32_fp8_fp8 v[212:215], a[178:179], v[174:175], v[212:215]// 000000006864: D3F300D4 0F535DB2
	buffer_load_dword v12, v5, s[16:19], 0 offen               // 00000000686C: E0501000 80040C05
	v_mfma_f32_16x16x32_fp8_fp8 v[216:219], a[180:181], v[148:149], v[216:219]// 000000006874: D3F300D8 0F6329B4
	v_mfma_f32_16x16x32_fp8_fp8 v[216:219], a[182:183], v[150:151], v[216:219]// 00000000687C: D3F300D8 0F632DB6
	buffer_load_dwordx4 a[84:87], v41, s[12:15], 0 offen       // 000000006884: E05C1000 80835429
	v_mfma_f32_16x16x32_fp8_fp8 v[220:223], a[180:181], v[172:173], v[220:223]// 00000000688C: D3F300DC 0F7359B4
	v_mfma_f32_16x16x32_fp8_fp8 v[220:223], a[182:183], v[174:175], v[220:223]// 000000006894: D3F300DC 0F735DB6
	v_mfma_f32_16x16x32_fp8_fp8 v[224:227], a[184:185], v[148:149], v[224:227]// 00000000689C: D3F300E0 0F8329B8
	v_mfma_f32_16x16x32_fp8_fp8 v[224:227], a[186:187], v[150:151], v[224:227]// 0000000068A4: D3F300E0 0F832DBA
	buffer_load_dwordx4 a[88:91], v42, s[12:15], 0 offen       // 0000000068AC: E05C1000 8083582A
	v_mfma_f32_16x16x32_fp8_fp8 v[228:231], a[184:185], v[172:173], v[228:231]// 0000000068B4: D3F300E4 0F9359B8
	v_mfma_f32_16x16x32_fp8_fp8 v[228:231], a[186:187], v[174:175], v[228:231]// 0000000068BC: D3F300E4 0F935DBA
	v_mfma_f32_16x16x32_fp8_fp8 v[232:235], a[188:189], v[148:149], v[232:235]// 0000000068C4: D3F300E8 0FA329BC
	v_mfma_f32_16x16x32_fp8_fp8 v[232:235], a[190:191], v[150:151], v[232:235]// 0000000068CC: D3F300E8 0FA32DBE
	buffer_load_dwordx4 a[92:95], v43, s[12:15], 0 offen       // 0000000068D4: E05C1000 80835C2B
	v_mfma_f32_16x16x32_fp8_fp8 v[236:239], a[188:189], v[172:173], v[236:239]// 0000000068DC: D3F300EC 0FB359BC
	v_mfma_f32_16x16x32_fp8_fp8 v[236:239], a[190:191], v[174:175], v[236:239]// 0000000068E4: D3F300EC 0FB35DBE
	s_add_u32 s60, 0x200, s80                                  // 0000000068EC: 803C50FF 00000200
	s_cmp_lt_u32 s60, s81                                      // 0000000068F4: BF0A513C
	s_cselect_b32 s56, s56, 0                                  // 0000000068F8: 85388038
	s_cselect_b32 s78, s78, 0                                  // 0000000068FC: 854E804E
	s_cselect_b32 s79, s79, 0                                  // 000000006900: 854F804F
	s_add_u32 s12, s56, s12                                    // 000000006904: 800C0C38
	s_addc_u32 s13, 0, s13                                     // 000000006908: 820D0D80
	s_add_u32 s16, s79, s16                                    // 00000000690C: 8010104F
	s_addc_u32 s17, 0, s17                                     // 000000006910: 82111180
	v_mul_f32_e32 v208, v24, v208                              // 000000006914: 0BA1A118
	v_mul_f32_e32 v209, v24, v209                              // 000000006918: 0BA3A318
	v_mul_f32_e32 v210, v24, v210                              // 00000000691C: 0BA5A518
	v_mul_f32_e32 v211, v24, v211                              // 000000006920: 0BA7A718
	v_mul_f32_dpp v208, v13, v208 row_newbcast:0 row_mask:0xf bank_mask:0xf// 000000006924: 0BA1A0FA FF01500D
	v_mul_f32_dpp v209, v13, v209 row_newbcast:1 row_mask:0xf bank_mask:0xf// 00000000692C: 0BA3A2FA FF01510D
	v_mul_f32_dpp v210, v13, v210 row_newbcast:2 row_mask:0xf bank_mask:0xf// 000000006934: 0BA5A4FA FF01520D
	v_mul_f32_dpp v211, v13, v211 row_newbcast:3 row_mask:0xf bank_mask:0xf// 00000000693C: 0BA7A6FA FF01530D
	v_mul_f32_e32 v208, v20, v208                              // 000000006944: 0BA1A114
	v_mul_f32_e32 v209, v20, v209                              // 000000006948: 0BA3A314
	v_mul_f32_e32 v210, v20, v210                              // 00000000694C: 0BA5A514
	v_mul_f32_e32 v211, v20, v211                              // 000000006950: 0BA7A714
	v_mul_f32_e32 v212, v25, v212                              // 000000006954: 0BA9A919
	v_mul_f32_e32 v213, v25, v213                              // 000000006958: 0BABAB19
	v_mul_f32_e32 v214, v25, v214                              // 00000000695C: 0BADAD19
	v_mul_f32_e32 v215, v25, v215                              // 000000006960: 0BAFAF19
	v_mul_f32_dpp v212, v13, v212 row_newbcast:0 row_mask:0xf bank_mask:0xf// 000000006964: 0BA9A8FA FF01500D
	v_mul_f32_dpp v213, v13, v213 row_newbcast:1 row_mask:0xf bank_mask:0xf// 00000000696C: 0BABAAFA FF01510D
	v_mul_f32_dpp v214, v13, v214 row_newbcast:2 row_mask:0xf bank_mask:0xf// 000000006974: 0BADACFA FF01520D
	v_mul_f32_dpp v215, v13, v215 row_newbcast:3 row_mask:0xf bank_mask:0xf// 00000000697C: 0BAFAEFA FF01530D
	v_mul_f32_e32 v212, v21, v212                              // 000000006984: 0BA9A915
	v_mul_f32_e32 v213, v21, v213                              // 000000006988: 0BABAB15
	v_mul_f32_e32 v214, v21, v214                              // 00000000698C: 0BADAD15
	v_mul_f32_e32 v215, v21, v215                              // 000000006990: 0BAFAF15
	v_mul_f32_e32 v216, v24, v216                              // 000000006994: 0BB1B118
	v_mul_f32_e32 v217, v24, v217                              // 000000006998: 0BB3B318
	v_mul_f32_e32 v218, v24, v218                              // 00000000699C: 0BB5B518
	v_mul_f32_e32 v219, v24, v219                              // 0000000069A0: 0BB7B718
	v_mul_f32_dpp v216, v13, v216 row_newbcast:4 row_mask:0xf bank_mask:0xf// 0000000069A4: 0BB1B0FA FF01540D
	v_mul_f32_dpp v217, v13, v217 row_newbcast:5 row_mask:0xf bank_mask:0xf// 0000000069AC: 0BB3B2FA FF01550D
	v_mul_f32_dpp v218, v13, v218 row_newbcast:6 row_mask:0xf bank_mask:0xf// 0000000069B4: 0BB5B4FA FF01560D
	v_mul_f32_dpp v219, v13, v219 row_newbcast:7 row_mask:0xf bank_mask:0xf// 0000000069BC: 0BB7B6FA FF01570D
	v_mul_f32_e32 v216, v20, v216                              // 0000000069C4: 0BB1B114
	v_mul_f32_e32 v217, v20, v217                              // 0000000069C8: 0BB3B314
	v_mul_f32_e32 v218, v20, v218                              // 0000000069CC: 0BB5B514
	v_mul_f32_e32 v219, v20, v219                              // 0000000069D0: 0BB7B714
	v_mul_f32_e32 v220, v25, v220                              // 0000000069D4: 0BB9B919
	v_mul_f32_e32 v221, v25, v221                              // 0000000069D8: 0BBBBB19
	v_mul_f32_e32 v222, v25, v222                              // 0000000069DC: 0BBDBD19
	v_mul_f32_e32 v223, v25, v223                              // 0000000069E0: 0BBFBF19
	v_mul_f32_dpp v220, v13, v220 row_newbcast:4 row_mask:0xf bank_mask:0xf// 0000000069E4: 0BB9B8FA FF01540D
	v_mul_f32_dpp v221, v13, v221 row_newbcast:5 row_mask:0xf bank_mask:0xf// 0000000069EC: 0BBBBAFA FF01550D
	v_mul_f32_dpp v222, v13, v222 row_newbcast:6 row_mask:0xf bank_mask:0xf// 0000000069F4: 0BBDBCFA FF01560D
	v_mul_f32_dpp v223, v13, v223 row_newbcast:7 row_mask:0xf bank_mask:0xf// 0000000069FC: 0BBFBEFA FF01570D
	v_mul_f32_e32 v220, v21, v220                              // 000000006A04: 0BB9B915
	v_mul_f32_e32 v221, v21, v221                              // 000000006A08: 0BBBBB15
	v_mul_f32_e32 v222, v21, v222                              // 000000006A0C: 0BBDBD15
	v_mul_f32_e32 v223, v21, v223                              // 000000006A10: 0BBFBF15
	v_mul_f32_e32 v224, v24, v224                              // 000000006A14: 0BC1C118
	v_mul_f32_e32 v225, v24, v225                              // 000000006A18: 0BC3C318
	v_mul_f32_e32 v226, v24, v226                              // 000000006A1C: 0BC5C518
	v_mul_f32_e32 v227, v24, v227                              // 000000006A20: 0BC7C718
	v_mul_f32_dpp v224, v13, v224 row_newbcast:8 row_mask:0xf bank_mask:0xf// 000000006A24: 0BC1C0FA FF01580D
	v_mul_f32_dpp v225, v13, v225 row_newbcast:9 row_mask:0xf bank_mask:0xf// 000000006A2C: 0BC3C2FA FF01590D
	v_mul_f32_dpp v226, v13, v226 row_newbcast:10 row_mask:0xf bank_mask:0xf// 000000006A34: 0BC5C4FA FF015A0D
	v_mul_f32_dpp v227, v13, v227 row_newbcast:11 row_mask:0xf bank_mask:0xf// 000000006A3C: 0BC7C6FA FF015B0D
	v_mul_f32_e32 v224, v20, v224                              // 000000006A44: 0BC1C114
	v_mul_f32_e32 v225, v20, v225                              // 000000006A48: 0BC3C314
	v_mul_f32_e32 v226, v20, v226                              // 000000006A4C: 0BC5C514
	v_mul_f32_e32 v227, v20, v227                              // 000000006A50: 0BC7C714
	v_mul_f32_e32 v228, v25, v228                              // 000000006A54: 0BC9C919
	v_mul_f32_e32 v229, v25, v229                              // 000000006A58: 0BCBCB19
	v_mul_f32_e32 v230, v25, v230                              // 000000006A5C: 0BCDCD19
	v_mul_f32_e32 v231, v25, v231                              // 000000006A60: 0BCFCF19
	v_mul_f32_dpp v228, v13, v228 row_newbcast:8 row_mask:0xf bank_mask:0xf// 000000006A64: 0BC9C8FA FF01580D
	v_mul_f32_dpp v229, v13, v229 row_newbcast:9 row_mask:0xf bank_mask:0xf// 000000006A6C: 0BCBCAFA FF01590D
	v_mul_f32_dpp v230, v13, v230 row_newbcast:10 row_mask:0xf bank_mask:0xf// 000000006A74: 0BCDCCFA FF015A0D
	v_mul_f32_dpp v231, v13, v231 row_newbcast:11 row_mask:0xf bank_mask:0xf// 000000006A7C: 0BCFCEFA FF015B0D
	v_mul_f32_e32 v228, v21, v228                              // 000000006A84: 0BC9C915
	v_mul_f32_e32 v229, v21, v229                              // 000000006A88: 0BCBCB15
	v_mul_f32_e32 v230, v21, v230                              // 000000006A8C: 0BCDCD15
	v_mul_f32_e32 v231, v21, v231                              // 000000006A90: 0BCFCF15
	v_mul_f32_e32 v232, v24, v232                              // 000000006A94: 0BD1D118
	v_mul_f32_e32 v233, v24, v233                              // 000000006A98: 0BD3D318
	v_mul_f32_e32 v234, v24, v234                              // 000000006A9C: 0BD5D518
	v_mul_f32_e32 v235, v24, v235                              // 000000006AA0: 0BD7D718
	v_mul_f32_dpp v232, v13, v232 row_newbcast:12 row_mask:0xf bank_mask:0xf// 000000006AA4: 0BD1D0FA FF015C0D
	v_mul_f32_dpp v233, v13, v233 row_newbcast:13 row_mask:0xf bank_mask:0xf// 000000006AAC: 0BD3D2FA FF015D0D
	v_mul_f32_dpp v234, v13, v234 row_newbcast:14 row_mask:0xf bank_mask:0xf// 000000006AB4: 0BD5D4FA FF015E0D
	v_mul_f32_dpp v235, v13, v235 row_newbcast:15 row_mask:0xf bank_mask:0xf// 000000006ABC: 0BD7D6FA FF015F0D
	v_mul_f32_e32 v232, v20, v232                              // 000000006AC4: 0BD1D114
	v_mul_f32_e32 v233, v20, v233                              // 000000006AC8: 0BD3D314
	v_mul_f32_e32 v234, v20, v234                              // 000000006ACC: 0BD5D514
	v_mul_f32_e32 v235, v20, v235                              // 000000006AD0: 0BD7D714
	v_mul_f32_e32 v236, v25, v236                              // 000000006AD4: 0BD9D919
	v_mul_f32_e32 v237, v25, v237                              // 000000006AD8: 0BDBDB19
	v_mul_f32_e32 v238, v25, v238                              // 000000006ADC: 0BDDDD19
	v_mul_f32_e32 v239, v25, v239                              // 000000006AE0: 0BDFDF19
	v_mul_f32_dpp v236, v13, v236 row_newbcast:12 row_mask:0xf bank_mask:0xf// 000000006AE4: 0BD9D8FA FF015C0D
	v_mul_f32_dpp v237, v13, v237 row_newbcast:13 row_mask:0xf bank_mask:0xf// 000000006AEC: 0BDBDAFA FF015D0D
	v_mul_f32_dpp v238, v13, v238 row_newbcast:14 row_mask:0xf bank_mask:0xf// 000000006AF4: 0BDDDCFA FF015E0D
	v_mul_f32_dpp v239, v13, v239 row_newbcast:15 row_mask:0xf bank_mask:0xf// 000000006AFC: 0BDFDEFA FF015F0D
	v_mul_f32_e32 v236, v21, v236                              // 000000006B04: 0BD9D915
	v_mul_f32_e32 v237, v21, v237                              // 000000006B08: 0BDBDB15
	v_mul_f32_e32 v238, v21, v238                              // 000000006B0C: 0BDDDD15
	v_mul_f32_e32 v239, v21, v239                              // 000000006B10: 0BDFDF15
	v_cvt_pkrtz_f16_f32 v208, v208, v209                       // 000000006B14: D29600D0 0003A3D0
	v_cvt_pkrtz_f16_f32 v209, v210, v211                       // 000000006B1C: D29600D1 0003A7D2
	v_cvt_pkrtz_f16_f32 v210, v212, v213                       // 000000006B24: D29600D2 0003ABD4
	v_cvt_pkrtz_f16_f32 v211, v214, v215                       // 000000006B2C: D29600D3 0003AFD6
	v_cvt_pkrtz_f16_f32 v212, v216, v217                       // 000000006B34: D29600D4 0003B3D8
	v_cvt_pkrtz_f16_f32 v213, v218, v219                       // 000000006B3C: D29600D5 0003B7DA
	v_cvt_pkrtz_f16_f32 v214, v220, v221                       // 000000006B44: D29600D6 0003BBDC
	v_cvt_pkrtz_f16_f32 v215, v222, v223                       // 000000006B4C: D29600D7 0003BFDE
	v_cvt_pkrtz_f16_f32 v216, v224, v225                       // 000000006B54: D29600D8 0003C3E0
	v_cvt_pkrtz_f16_f32 v217, v226, v227                       // 000000006B5C: D29600D9 0003C7E2
	v_cvt_pkrtz_f16_f32 v218, v228, v229                       // 000000006B64: D29600DA 0003CBE4
	v_cvt_pkrtz_f16_f32 v219, v230, v231                       // 000000006B6C: D29600DB 0003CFE6
	v_cvt_pkrtz_f16_f32 v220, v232, v233                       // 000000006B74: D29600DC 0003D3E8
	v_cvt_pkrtz_f16_f32 v221, v234, v235                       // 000000006B7C: D29600DD 0003D7EA
	v_cvt_pkrtz_f16_f32 v222, v236, v237                       // 000000006B84: D29600DE 0003DBEC
	v_cvt_pkrtz_f16_f32 v223, v238, v239                       // 000000006B8C: D29600DF 0003DFEE
	s_cmp_ge_u32 s80, 0x200                                    // 000000006B94: BF09FF50 00000200
	s_cselect_b32 s59, 0x200, s59                              // 000000006B9C: 853B3BFF 00000200
	s_setvskip s20, 0                                          // 000000006BA4: BF108014
	global_atomic_pk_add_f16 v80, v64, s[8:9]                  // 000000006BA8: DD388000 00084050
	s_setvskip 0, 0                                            // 000000006BB0: BF108080
	s_setvskip s20, 0                                          // 000000006BB4: BF108014
	global_atomic_pk_add_f16 v80, v65, s[8:9] offset:256       // 000000006BB8: DD388100 00084150
	s_setvskip 0, 0                                            // 000000006BC0: BF108080
	s_setvskip s20, 1                                          // 000000006BC4: BF108114
	global_atomic_pk_add_f16 v82, v66, s[8:9]                  // 000000006BC8: DD388000 00084252
	s_setvskip 0, 0                                            // 000000006BD0: BF108080
	s_setvskip s20, 1                                          // 000000006BD4: BF108114
	global_atomic_pk_add_f16 v82, v67, s[8:9] offset:256       // 000000006BD8: DD388100 00084352
	s_setvskip 0, 0                                            // 000000006BE0: BF108080
	s_setvskip s20, 2                                          // 000000006BE4: BF108214
	global_atomic_pk_add_f16 v84, v68, s[8:9]                  // 000000006BE8: DD388000 00084454
	s_setvskip 0, 0                                            // 000000006BF0: BF108080
	s_setvskip s20, 2                                          // 000000006BF4: BF108214
	global_atomic_pk_add_f16 v84, v69, s[8:9] offset:256       // 000000006BF8: DD388100 00084554
	s_setvskip 0, 0                                            // 000000006C00: BF108080
	s_setvskip s20, 3                                          // 000000006C04: BF108314
	global_atomic_pk_add_f16 v86, v70, s[8:9]                  // 000000006C08: DD388000 00084656
	s_setvskip 0, 0                                            // 000000006C10: BF108080
	s_setvskip s20, 3                                          // 000000006C14: BF108314
	global_atomic_pk_add_f16 v86, v71, s[8:9] offset:256       // 000000006C18: DD388100 00084756
	s_setvskip 0, 0                                            // 000000006C20: BF108080
	s_setvskip s20, 4                                          // 000000006C24: BF108414
	global_atomic_pk_add_f16 v88, v72, s[8:9]                  // 000000006C28: DD388000 00084858
	s_setvskip 0, 0                                            // 000000006C30: BF108080
	s_setvskip s20, 4                                          // 000000006C34: BF108414
	global_atomic_pk_add_f16 v88, v73, s[8:9] offset:256       // 000000006C38: DD388100 00084958
	s_setvskip 0, 0                                            // 000000006C40: BF108080
	s_setvskip s20, 5                                          // 000000006C44: BF108514
	global_atomic_pk_add_f16 v90, v74, s[8:9]                  // 000000006C48: DD388000 00084A5A
	s_setvskip 0, 0                                            // 000000006C50: BF108080
	s_setvskip s20, 5                                          // 000000006C54: BF108514
	global_atomic_pk_add_f16 v90, v75, s[8:9] offset:256       // 000000006C58: DD388100 00084B5A
	s_setvskip 0, 0                                            // 000000006C60: BF108080
	s_setvskip s20, 6                                          // 000000006C64: BF108614
	global_atomic_pk_add_f16 v92, v76, s[8:9]                  // 000000006C68: DD388000 00084C5C
	s_setvskip 0, 0                                            // 000000006C70: BF108080
	s_setvskip s20, 6                                          // 000000006C74: BF108614
	global_atomic_pk_add_f16 v92, v77, s[8:9] offset:256       // 000000006C78: DD388100 00084D5C
	s_setvskip 0, 0                                            // 000000006C80: BF108080
	s_setvskip s20, 7                                          // 000000006C84: BF108714
	global_atomic_pk_add_f16 v94, v78, s[8:9]                  // 000000006C88: DD388000 00084E5E
	s_setvskip 0, 0                                            // 000000006C90: BF108080
	s_setvskip s20, 7                                          // 000000006C94: BF108714
	global_atomic_pk_add_f16 v94, v79, s[8:9] offset:256       // 000000006C98: DD388100 00084F5E
	s_setvskip 0, 0                                            // 000000006CA0: BF108080
	s_add_u32 s8, s59, s8                                      // 000000006CA4: 8008083B
	s_addc_u32 s9, 0, s9                                       // 000000006CA8: 82090980
	s_addk_i32 s80, 0x100                                      // 000000006CAC: B7500100
	s_cmp_lt_i32 s80, s81                                      // 000000006CB0: BF045150
	s_cbranch_scc0 label_0FAF                                  // 000000006CB4: BF840001
	s_branch label_0B62                                        // 000000006CB8: BF82FBB3

0000000000006cbc <label_0FAF>:
	s_nop 0                                                    // 000000006CBC: BF800000
	s_nop 0                                                    // 000000006CC0: BF800000
	s_branch label_1CF0                                        // 000000006CC4: BF820D3E

0000000000006cc8 <label_0FB2>:
	s_waitcnt vmcnt(16) lgkmcnt(0)                             // 000000006CC8: BF8C4070
	s_barrier                                                  // 000000006CCC: BF8A0000
	v_mfma_f32_16x16x32_fp8_fp8 v[128:131], a[0:1], v[176:177], v[128:131]// 000000006CD0: D3F30080 0E036100
	buffer_load_dwordx4 a[96:99], v34, s[92:95], 0 offen       // 000000006CD8: E05C1000 80976022
	v_mfma_f32_16x16x32_fp8_fp8 v[128:131], a[2:3], v[178:179], v[128:131]// 000000006CE0: D3F30080 0E036502
	v_mfma_f32_16x16x32_fp8_fp8 v[128:131], a[4:5], v[180:181], v[128:131]// 000000006CE8: D3F30080 0E036904
	buffer_load_dword v26, s[20:23], 0 offen lds               // 000000006CF0: E0511000 8005001A
	s_add_u32 m0, 0x100, s51                                   // 000000006CF8: 807C33FF 00000100
	v_mfma_f32_16x16x32_fp8_fp8 v[128:131], a[6:7], v[182:183], v[128:131]// 000000006D00: D3F30080 0E036D06
	v_mfma_f32_16x16x32_fp8_fp8 v[128:131], a[8:9], v[184:185], v[128:131]// 000000006D08: D3F30080 0E037108
	buffer_load_dwordx4 a[100:103], v34, s[92:95], 0 offen offset:1024// 000000006D10: E05C1400 80976422
	v_mfma_f32_16x16x32_fp8_fp8 v[128:131], a[10:11], v[186:187], v[128:131]// 000000006D18: D3F30080 0E03750A
	v_mfma_f32_16x16x32_fp8_fp8 v[128:131], a[12:13], v[188:189], v[128:131]// 000000006D20: D3F30080 0E03790C
	buffer_load_dword v27, s[20:23], 0 offen lds               // 000000006D28: E0511000 8005001B
	s_add_u32 m0, 0x200, s51                                   // 000000006D30: 807C33FF 00000200
	v_mfma_f32_16x16x32_fp8_fp8 v[128:131], a[14:15], v[190:191], v[128:131]// 000000006D38: D3F30080 0E037D0E
	v_mfma_f32_16x16x32_fp8_fp8 v[132:135], a[0:1], v[192:193], v[132:135]// 000000006D40: D3F30084 0E138100
	buffer_load_dwordx4 a[104:107], v34, s[92:95], 0 offen offset:2048// 000000006D48: E05C1800 80976822
	v_mfma_f32_16x16x32_fp8_fp8 v[132:135], a[2:3], v[194:195], v[132:135]// 000000006D50: D3F30084 0E138502
	v_mfma_f32_16x16x32_fp8_fp8 v[132:135], a[4:5], v[196:197], v[132:135]// 000000006D58: D3F30084 0E138904
	buffer_load_dword v28, s[20:23], 0 offen lds               // 000000006D60: E0511000 8005001C
	s_add_u32 m0, 0x300, s51                                   // 000000006D68: 807C33FF 00000300
	v_mfma_f32_16x16x32_fp8_fp8 v[132:135], a[6:7], v[198:199], v[132:135]// 000000006D70: D3F30084 0E138D06
	v_mfma_f32_16x16x32_fp8_fp8 v[132:135], a[8:9], v[200:201], v[132:135]// 000000006D78: D3F30084 0E139108
	buffer_load_dwordx4 a[108:111], v34, s[92:95], 0 offen offset:3072// 000000006D80: E05C1C00 80976C22
	v_mfma_f32_16x16x32_fp8_fp8 v[132:135], a[10:11], v[202:203], v[132:135]// 000000006D88: D3F30084 0E13950A
	v_mfma_f32_16x16x32_fp8_fp8 v[132:135], a[12:13], v[204:205], v[132:135]// 000000006D90: D3F30084 0E13990C
	buffer_load_dword v29, s[20:23], 0 offen lds               // 000000006D98: E0511000 8005001D
	s_add_u32 m0, 0x400, s51                                   // 000000006DA0: 807C33FF 00000400
	v_mfma_f32_16x16x32_fp8_fp8 v[132:135], a[14:15], v[206:207], v[132:135]// 000000006DA8: D3F30084 0E139D0E
	v_mfma_f32_16x16x32_fp8_fp8 v[136:139], a[16:17], v[176:177], v[136:139]// 000000006DB0: D3F30088 0E236110
	buffer_load_dwordx4 a[112:115], v35, s[92:95], 0 offen     // 000000006DB8: E05C1000 80977023
	v_mfma_f32_16x16x32_fp8_fp8 v[136:139], a[18:19], v[178:179], v[136:139]// 000000006DC0: D3F30088 0E236512
	v_mfma_f32_16x16x32_fp8_fp8 v[136:139], a[20:21], v[180:181], v[136:139]// 000000006DC8: D3F30088 0E236914
	buffer_load_dword v30, s[20:23], 0 offen lds               // 000000006DD0: E0511000 8005001E
	s_add_u32 m0, 0x500, s51                                   // 000000006DD8: 807C33FF 00000500
	v_mfma_f32_16x16x32_fp8_fp8 v[136:139], a[22:23], v[182:183], v[136:139]// 000000006DE0: D3F30088 0E236D16
	v_mfma_f32_16x16x32_fp8_fp8 v[136:139], a[24:25], v[184:185], v[136:139]// 000000006DE8: D3F30088 0E237118
	buffer_load_dwordx4 a[116:119], v35, s[92:95], 0 offen offset:1024// 000000006DF0: E05C1400 80977423
	v_mfma_f32_16x16x32_fp8_fp8 v[136:139], a[26:27], v[186:187], v[136:139]// 000000006DF8: D3F30088 0E23751A
	v_mfma_f32_16x16x32_fp8_fp8 v[136:139], a[28:29], v[188:189], v[136:139]// 000000006E00: D3F30088 0E23791C
	buffer_load_dword v31, s[20:23], 0 offen lds               // 000000006E08: E0511000 8005001F
	s_add_u32 m0, 0x600, s51                                   // 000000006E10: 807C33FF 00000600
	v_mfma_f32_16x16x32_fp8_fp8 v[136:139], a[30:31], v[190:191], v[136:139]// 000000006E18: D3F30088 0E237D1E
	v_mfma_f32_16x16x32_fp8_fp8 v[140:143], a[16:17], v[192:193], v[140:143]// 000000006E20: D3F3008C 0E338110
	buffer_load_dwordx4 a[120:123], v35, s[92:95], 0 offen offset:2048// 000000006E28: E05C1800 80977823
	v_mfma_f32_16x16x32_fp8_fp8 v[140:143], a[18:19], v[194:195], v[140:143]// 000000006E30: D3F3008C 0E338512
	v_mfma_f32_16x16x32_fp8_fp8 v[140:143], a[20:21], v[196:197], v[140:143]// 000000006E38: D3F3008C 0E338914
	buffer_load_dword v32, s[20:23], 0 offen lds               // 000000006E40: E0511000 80050020
	s_add_u32 m0, 0x700, s51                                   // 000000006E48: 807C33FF 00000700
	v_mfma_f32_16x16x32_fp8_fp8 v[140:143], a[22:23], v[198:199], v[140:143]// 000000006E50: D3F3008C 0E338D16
	v_mfma_f32_16x16x32_fp8_fp8 v[140:143], a[24:25], v[200:201], v[140:143]// 000000006E58: D3F3008C 0E339118
	buffer_load_dwordx4 a[124:127], v35, s[92:95], 0 offen offset:3072// 000000006E60: E05C1C00 80977C23
	v_mfma_f32_16x16x32_fp8_fp8 v[140:143], a[26:27], v[202:203], v[140:143]// 000000006E68: D3F3008C 0E33951A
	v_mfma_f32_16x16x32_fp8_fp8 v[140:143], a[28:29], v[204:205], v[140:143]// 000000006E70: D3F3008C 0E33991C
	buffer_load_dword v33, s[20:23], 0 offen lds               // 000000006E78: E0511000 80050021
	s_add_u32 m0, 0, s50                                       // 000000006E80: 807C3280
	v_mfma_f32_16x16x32_fp8_fp8 v[140:143], a[30:31], v[206:207], v[140:143]// 000000006E84: D3F3008C 0E339D1E
	s_waitcnt vmcnt(28)                                        // 000000006E8C: BF8C4F7C
	v_mfma_f32_16x16x32_fp8_fp8 v[144:147], a[32:33], v[176:177], v[144:147]// 000000006E90: D3F30090 0E436120
	buffer_load_dwordx4 a[128:131], v36, s[92:95], 0 offen     // 000000006E98: E05C1000 80978024
	v_mfma_f32_16x16x32_fp8_fp8 v[144:147], a[34:35], v[178:179], v[144:147]// 000000006EA0: D3F30090 0E436522
	v_mfma_f32_16x16x32_fp8_fp8 v[144:147], a[36:37], v[180:181], v[144:147]// 000000006EA8: D3F30090 0E436924
	v_mfma_f32_16x16x32_fp8_fp8 v[144:147], a[38:39], v[182:183], v[144:147]// 000000006EB0: D3F30090 0E436D26
	v_mfma_f32_16x16x32_fp8_fp8 v[144:147], a[40:41], v[184:185], v[144:147]// 000000006EB8: D3F30090 0E437128
	buffer_load_dwordx4 a[132:135], v36, s[92:95], 0 offen offset:1024// 000000006EC0: E05C1400 80978424
	v_mfma_f32_16x16x32_fp8_fp8 v[144:147], a[42:43], v[186:187], v[144:147]// 000000006EC8: D3F30090 0E43752A
	v_mfma_f32_16x16x32_fp8_fp8 v[144:147], a[44:45], v[188:189], v[144:147]// 000000006ED0: D3F30090 0E43792C
	v_mfma_f32_16x16x32_fp8_fp8 v[144:147], a[46:47], v[190:191], v[144:147]// 000000006ED8: D3F30090 0E437D2E
	v_mfma_f32_16x16x32_fp8_fp8 v[148:151], a[32:33], v[192:193], v[148:151]// 000000006EE0: D3F30094 0E538120
	buffer_load_dwordx4 a[136:139], v36, s[92:95], 0 offen offset:2048// 000000006EE8: E05C1800 80978824
	v_mfma_f32_16x16x32_fp8_fp8 v[148:151], a[34:35], v[194:195], v[148:151]// 000000006EF0: D3F30094 0E538522
	v_mfma_f32_16x16x32_fp8_fp8 v[148:151], a[36:37], v[196:197], v[148:151]// 000000006EF8: D3F30094 0E538924
	v_mfma_f32_16x16x32_fp8_fp8 v[148:151], a[38:39], v[198:199], v[148:151]// 000000006F00: D3F30094 0E538D26
	v_mfma_f32_16x16x32_fp8_fp8 v[148:151], a[40:41], v[200:201], v[148:151]// 000000006F08: D3F30094 0E539128
	buffer_load_dwordx4 a[140:143], v36, s[92:95], 0 offen offset:3072// 000000006F10: E05C1C00 80978C24
	v_mfma_f32_16x16x32_fp8_fp8 v[148:151], a[42:43], v[202:203], v[148:151]// 000000006F18: D3F30094 0E53952A
	v_mfma_f32_16x16x32_fp8_fp8 v[148:151], a[44:45], v[204:205], v[148:151]// 000000006F20: D3F30094 0E53992C
	v_mfma_f32_16x16x32_fp8_fp8 v[148:151], a[46:47], v[206:207], v[148:151]// 000000006F28: D3F30094 0E539D2E
	s_waitcnt vmcnt(28)                                        // 000000006F30: BF8C4F7C
	v_mfma_f32_16x16x32_fp8_fp8 v[152:155], a[48:49], v[176:177], v[152:155]// 000000006F34: D3F30098 0E636130
	buffer_load_dwordx4 a[144:147], v37, s[92:95], 0 offen     // 000000006F3C: E05C1000 80979025
	v_mfma_f32_16x16x32_fp8_fp8 v[152:155], a[50:51], v[178:179], v[152:155]// 000000006F44: D3F30098 0E636532
	v_mfma_f32_16x16x32_fp8_fp8 v[152:155], a[52:53], v[180:181], v[152:155]// 000000006F4C: D3F30098 0E636934
	v_mfma_f32_16x16x32_fp8_fp8 v[152:155], a[54:55], v[182:183], v[152:155]// 000000006F54: D3F30098 0E636D36
	v_mfma_f32_16x16x32_fp8_fp8 v[152:155], a[56:57], v[184:185], v[152:155]// 000000006F5C: D3F30098 0E637138
	buffer_load_dwordx4 a[148:151], v37, s[92:95], 0 offen offset:1024// 000000006F64: E05C1400 80979425
	v_mfma_f32_16x16x32_fp8_fp8 v[152:155], a[58:59], v[186:187], v[152:155]// 000000006F6C: D3F30098 0E63753A
	v_mfma_f32_16x16x32_fp8_fp8 v[152:155], a[60:61], v[188:189], v[152:155]// 000000006F74: D3F30098 0E63793C
	v_mfma_f32_16x16x32_fp8_fp8 v[152:155], a[62:63], v[190:191], v[152:155]// 000000006F7C: D3F30098 0E637D3E
	v_mfma_f32_16x16x32_fp8_fp8 v[156:159], a[48:49], v[192:193], v[156:159]// 000000006F84: D3F3009C 0E738130
	buffer_load_dwordx4 a[152:155], v37, s[92:95], 0 offen offset:2048// 000000006F8C: E05C1800 80979825
	v_mfma_f32_16x16x32_fp8_fp8 v[156:159], a[50:51], v[194:195], v[156:159]// 000000006F94: D3F3009C 0E738532
	v_mfma_f32_16x16x32_fp8_fp8 v[156:159], a[52:53], v[196:197], v[156:159]// 000000006F9C: D3F3009C 0E738934
	v_mfma_f32_16x16x32_fp8_fp8 v[156:159], a[54:55], v[198:199], v[156:159]// 000000006FA4: D3F3009C 0E738D36
	v_mfma_f32_16x16x32_fp8_fp8 v[156:159], a[56:57], v[200:201], v[156:159]// 000000006FAC: D3F3009C 0E739138
	buffer_load_dwordx4 a[156:159], v37, s[92:95], 0 offen offset:3072// 000000006FB4: E05C1C00 80979C25
	v_mfma_f32_16x16x32_fp8_fp8 v[156:159], a[58:59], v[202:203], v[156:159]// 000000006FBC: D3F3009C 0E73953A
	v_mfma_f32_16x16x32_fp8_fp8 v[156:159], a[60:61], v[204:205], v[156:159]// 000000006FC4: D3F3009C 0E73993C
	v_mfma_f32_16x16x32_fp8_fp8 v[156:159], a[62:63], v[206:207], v[156:159]// 000000006FCC: D3F3009C 0E739D3E
	s_waitcnt vmcnt(28)                                        // 000000006FD4: BF8C4F7C
	v_mfma_f32_16x16x32_fp8_fp8 v[160:163], a[64:65], v[176:177], v[160:163]// 000000006FD8: D3F300A0 0E836140
	buffer_load_dwordx4 a[160:163], v38, s[92:95], 0 offen     // 000000006FE0: E05C1000 8097A026
	v_mfma_f32_16x16x32_fp8_fp8 v[160:163], a[66:67], v[178:179], v[160:163]// 000000006FE8: D3F300A0 0E836542
	v_mfma_f32_16x16x32_fp8_fp8 v[160:163], a[68:69], v[180:181], v[160:163]// 000000006FF0: D3F300A0 0E836944
	v_mfma_f32_16x16x32_fp8_fp8 v[160:163], a[70:71], v[182:183], v[160:163]// 000000006FF8: D3F300A0 0E836D46
	v_mfma_f32_16x16x32_fp8_fp8 v[160:163], a[72:73], v[184:185], v[160:163]// 000000007000: D3F300A0 0E837148
	buffer_load_dwordx4 a[164:167], v38, s[92:95], 0 offen offset:1024// 000000007008: E05C1400 8097A426
	v_mfma_f32_16x16x32_fp8_fp8 v[160:163], a[74:75], v[186:187], v[160:163]// 000000007010: D3F300A0 0E83754A
	v_mfma_f32_16x16x32_fp8_fp8 v[160:163], a[76:77], v[188:189], v[160:163]// 000000007018: D3F300A0 0E83794C
	v_mfma_f32_16x16x32_fp8_fp8 v[160:163], a[78:79], v[190:191], v[160:163]// 000000007020: D3F300A0 0E837D4E
	v_mfma_f32_16x16x32_fp8_fp8 v[164:167], a[64:65], v[192:193], v[164:167]// 000000007028: D3F300A4 0E938140
	buffer_load_dwordx4 a[168:171], v38, s[92:95], 0 offen offset:2048// 000000007030: E05C1800 8097A826
	v_mfma_f32_16x16x32_fp8_fp8 v[164:167], a[66:67], v[194:195], v[164:167]// 000000007038: D3F300A4 0E938542
	v_mfma_f32_16x16x32_fp8_fp8 v[164:167], a[68:69], v[196:197], v[164:167]// 000000007040: D3F300A4 0E938944
	v_mfma_f32_16x16x32_fp8_fp8 v[164:167], a[70:71], v[198:199], v[164:167]// 000000007048: D3F300A4 0E938D46
	v_mfma_f32_16x16x32_fp8_fp8 v[164:167], a[72:73], v[200:201], v[164:167]// 000000007050: D3F300A4 0E939148
	buffer_load_dwordx4 a[172:175], v38, s[92:95], 0 offen offset:3072// 000000007058: E05C1C00 8097AC26
	v_mfma_f32_16x16x32_fp8_fp8 v[164:167], a[74:75], v[202:203], v[164:167]// 000000007060: D3F300A4 0E93954A
	v_mfma_f32_16x16x32_fp8_fp8 v[164:167], a[76:77], v[204:205], v[164:167]// 000000007068: D3F300A4 0E93994C
	v_mfma_f32_16x16x32_fp8_fp8 v[164:167], a[78:79], v[206:207], v[164:167]// 000000007070: D3F300A4 0E939D4E
	s_waitcnt vmcnt(28)                                        // 000000007078: BF8C4F7C
	v_mfma_f32_16x16x32_fp8_fp8 v[168:171], a[80:81], v[176:177], v[168:171]// 00000000707C: D3F300A8 0EA36150
	buffer_load_dwordx4 a[176:179], v39, s[92:95], 0 offen     // 000000007084: E05C1000 8097B027
	v_mfma_f32_16x16x32_fp8_fp8 v[168:171], a[82:83], v[178:179], v[168:171]// 00000000708C: D3F300A8 0EA36552
	v_mfma_f32_16x16x32_fp8_fp8 v[168:171], a[84:85], v[180:181], v[168:171]// 000000007094: D3F300A8 0EA36954
	v_mfma_f32_16x16x32_fp8_fp8 v[168:171], a[86:87], v[182:183], v[168:171]// 00000000709C: D3F300A8 0EA36D56
	v_mfma_f32_16x16x32_fp8_fp8 v[168:171], a[88:89], v[184:185], v[168:171]// 0000000070A4: D3F300A8 0EA37158
	buffer_load_dwordx4 a[180:183], v39, s[92:95], 0 offen offset:1024// 0000000070AC: E05C1400 8097B427
	v_mfma_f32_16x16x32_fp8_fp8 v[168:171], a[90:91], v[186:187], v[168:171]// 0000000070B4: D3F300A8 0EA3755A
	v_mfma_f32_16x16x32_fp8_fp8 v[168:171], a[92:93], v[188:189], v[168:171]// 0000000070BC: D3F300A8 0EA3795C
	v_mfma_f32_16x16x32_fp8_fp8 v[168:171], a[94:95], v[190:191], v[168:171]// 0000000070C4: D3F300A8 0EA37D5E
	v_mfma_f32_16x16x32_fp8_fp8 v[172:175], a[80:81], v[192:193], v[172:175]// 0000000070CC: D3F300AC 0EB38150
	buffer_load_dwordx4 a[184:187], v39, s[92:95], 0 offen offset:2048// 0000000070D4: E05C1800 8097B827
	v_mfma_f32_16x16x32_fp8_fp8 v[172:175], a[82:83], v[194:195], v[172:175]// 0000000070DC: D3F300AC 0EB38552
	v_mfma_f32_16x16x32_fp8_fp8 v[172:175], a[84:85], v[196:197], v[172:175]// 0000000070E4: D3F300AC 0EB38954
	v_mfma_f32_16x16x32_fp8_fp8 v[172:175], a[86:87], v[198:199], v[172:175]// 0000000070EC: D3F300AC 0EB38D56
	v_mfma_f32_16x16x32_fp8_fp8 v[172:175], a[88:89], v[200:201], v[172:175]// 0000000070F4: D3F300AC 0EB39158
	buffer_load_dwordx4 a[188:191], v39, s[92:95], 0 offen offset:3072// 0000000070FC: E05C1C00 8097BC27
	v_mfma_f32_16x16x32_fp8_fp8 v[172:175], a[90:91], v[202:203], v[172:175]// 000000007104: D3F300AC 0EB3955A
	v_mfma_f32_16x16x32_fp8_fp8 v[172:175], a[92:93], v[204:205], v[172:175]// 00000000710C: D3F300AC 0EB3995C
	v_mfma_f32_16x16x32_fp8_fp8 v[172:175], a[94:95], v[206:207], v[172:175]// 000000007114: D3F300AC 0EB39D5E
	s_waitcnt vmcnt(16)                                        // 00000000711C: BF8C4F70
	s_barrier                                                  // 000000007120: BF8A0000
	v_mfma_f32_16x16x32_fp8_fp8 v[64:67], a[96:97], v[176:177], v[64:67]// 000000007124: D3F30040 0D036160
	buffer_load_dwordx4 a[0:3], v34, s[24:27], 0 offen         // 00000000712C: E05C1000 80860022
	v_mfma_f32_16x16x32_fp8_fp8 v[64:67], a[98:99], v[178:179], v[64:67]// 000000007134: D3F30040 0D036562
	v_mfma_f32_16x16x32_fp8_fp8 v[64:67], a[100:101], v[180:181], v[64:67]// 00000000713C: D3F30040 0D036964
	v_mfma_f32_16x16x32_fp8_fp8 v[64:67], a[102:103], v[182:183], v[64:67]// 000000007144: D3F30040 0D036D66
	v_mfma_f32_16x16x32_fp8_fp8 v[64:67], a[104:105], v[184:185], v[64:67]// 00000000714C: D3F30040 0D037168
	buffer_load_dwordx4 a[4:7], v34, s[24:27], 0 offen offset:1024// 000000007154: E05C1400 80860422
	v_mfma_f32_16x16x32_fp8_fp8 v[64:67], a[106:107], v[186:187], v[64:67]// 00000000715C: D3F30040 0D03756A
	v_mfma_f32_16x16x32_fp8_fp8 v[64:67], a[108:109], v[188:189], v[64:67]// 000000007164: D3F30040 0D03796C
	v_mfma_f32_16x16x32_fp8_fp8 v[64:67], a[110:111], v[190:191], v[64:67]// 00000000716C: D3F30040 0D037D6E
	v_mfma_f32_16x16x32_fp8_fp8 v[68:71], a[96:97], v[192:193], v[68:71]// 000000007174: D3F30044 0D138160
	buffer_load_dwordx4 a[8:11], v34, s[24:27], 0 offen offset:2048// 00000000717C: E05C1800 80860822
	v_mfma_f32_16x16x32_fp8_fp8 v[68:71], a[98:99], v[194:195], v[68:71]// 000000007184: D3F30044 0D138562
	v_mfma_f32_16x16x32_fp8_fp8 v[68:71], a[100:101], v[196:197], v[68:71]// 00000000718C: D3F30044 0D138964
	v_mfma_f32_16x16x32_fp8_fp8 v[68:71], a[102:103], v[198:199], v[68:71]// 000000007194: D3F30044 0D138D66
	v_mfma_f32_16x16x32_fp8_fp8 v[68:71], a[104:105], v[200:201], v[68:71]// 00000000719C: D3F30044 0D139168
	buffer_load_dwordx4 a[12:15], v34, s[24:27], 0 offen offset:3072// 0000000071A4: E05C1C00 80860C22
	v_mfma_f32_16x16x32_fp8_fp8 v[68:71], a[106:107], v[202:203], v[68:71]// 0000000071AC: D3F30044 0D13956A
	v_mfma_f32_16x16x32_fp8_fp8 v[68:71], a[108:109], v[204:205], v[68:71]// 0000000071B4: D3F30044 0D13996C
	v_mfma_f32_16x16x32_fp8_fp8 v[68:71], a[110:111], v[206:207], v[68:71]// 0000000071BC: D3F30044 0D139D6E
	v_mfma_f32_16x16x32_fp8_fp8 v[72:75], a[112:113], v[176:177], v[72:75]// 0000000071C4: D3F30048 0D236170
	buffer_load_dwordx4 a[16:19], v35, s[24:27], 0 offen       // 0000000071CC: E05C1000 80861023
	v_mfma_f32_16x16x32_fp8_fp8 v[72:75], a[114:115], v[178:179], v[72:75]// 0000000071D4: D3F30048 0D236572
	v_mfma_f32_16x16x32_fp8_fp8 v[72:75], a[116:117], v[180:181], v[72:75]// 0000000071DC: D3F30048 0D236974
	v_mfma_f32_16x16x32_fp8_fp8 v[72:75], a[118:119], v[182:183], v[72:75]// 0000000071E4: D3F30048 0D236D76
	v_mfma_f32_16x16x32_fp8_fp8 v[72:75], a[120:121], v[184:185], v[72:75]// 0000000071EC: D3F30048 0D237178
	buffer_load_dwordx4 a[20:23], v35, s[24:27], 0 offen offset:1024// 0000000071F4: E05C1400 80861423
	v_mfma_f32_16x16x32_fp8_fp8 v[72:75], a[122:123], v[186:187], v[72:75]// 0000000071FC: D3F30048 0D23757A
	v_mfma_f32_16x16x32_fp8_fp8 v[72:75], a[124:125], v[188:189], v[72:75]// 000000007204: D3F30048 0D23797C
	v_mfma_f32_16x16x32_fp8_fp8 v[72:75], a[126:127], v[190:191], v[72:75]// 00000000720C: D3F30048 0D237D7E
	v_mfma_f32_16x16x32_fp8_fp8 v[76:79], a[112:113], v[192:193], v[76:79]// 000000007214: D3F3004C 0D338170
	buffer_load_dwordx4 a[24:27], v35, s[24:27], 0 offen offset:2048// 00000000721C: E05C1800 80861823
	v_mfma_f32_16x16x32_fp8_fp8 v[76:79], a[114:115], v[194:195], v[76:79]// 000000007224: D3F3004C 0D338572
	v_mfma_f32_16x16x32_fp8_fp8 v[76:79], a[116:117], v[196:197], v[76:79]// 00000000722C: D3F3004C 0D338974
	v_mfma_f32_16x16x32_fp8_fp8 v[76:79], a[118:119], v[198:199], v[76:79]// 000000007234: D3F3004C 0D338D76
	v_mfma_f32_16x16x32_fp8_fp8 v[76:79], a[120:121], v[200:201], v[76:79]// 00000000723C: D3F3004C 0D339178
	buffer_load_dwordx4 a[28:31], v35, s[24:27], 0 offen offset:3072// 000000007244: E05C1C00 80861C23
	v_mfma_f32_16x16x32_fp8_fp8 v[76:79], a[122:123], v[202:203], v[76:79]// 00000000724C: D3F3004C 0D33957A
	v_mfma_f32_16x16x32_fp8_fp8 v[76:79], a[124:125], v[204:205], v[76:79]// 000000007254: D3F3004C 0D33997C
	v_mfma_f32_16x16x32_fp8_fp8 v[76:79], a[126:127], v[206:207], v[76:79]// 00000000725C: D3F3004C 0D339D7E
	s_waitcnt vmcnt(20)                                        // 000000007264: BF8C4F74
	v_mfma_f32_16x16x32_fp8_fp8 v[80:83], a[128:129], v[176:177], v[80:83]// 000000007268: D3F30050 0D436180
	buffer_load_dwordx4 a[32:35], v36, s[24:27], 0 offen       // 000000007270: E05C1000 80862024
	v_mfma_f32_16x16x32_fp8_fp8 v[80:83], a[130:131], v[178:179], v[80:83]// 000000007278: D3F30050 0D436582
	v_mfma_f32_16x16x32_fp8_fp8 v[80:83], a[132:133], v[180:181], v[80:83]// 000000007280: D3F30050 0D436984
	ds_read_b128 v[208:211], v2 offset:8320                    // 000000007288: D9FE2080 D0000002
	v_mfma_f32_16x16x32_fp8_fp8 v[80:83], a[134:135], v[182:183], v[80:83]// 000000007290: D3F30050 0D436D86
	v_mfma_f32_16x16x32_fp8_fp8 v[80:83], a[136:137], v[184:185], v[80:83]// 000000007298: D3F30050 0D437188
	buffer_load_dwordx4 a[36:39], v36, s[24:27], 0 offen offset:1024// 0000000072A0: E05C1400 80862424
	v_mfma_f32_16x16x32_fp8_fp8 v[80:83], a[138:139], v[186:187], v[80:83]// 0000000072A8: D3F30050 0D43758A
	v_mfma_f32_16x16x32_fp8_fp8 v[80:83], a[140:141], v[188:189], v[80:83]// 0000000072B0: D3F30050 0D43798C
	ds_read_b128 v[212:215], v2 offset:8384                    // 0000000072B8: D9FE20C0 D4000002
	v_mfma_f32_16x16x32_fp8_fp8 v[80:83], a[142:143], v[190:191], v[80:83]// 0000000072C0: D3F30050 0D437D8E
	v_mfma_f32_16x16x32_fp8_fp8 v[84:87], a[128:129], v[192:193], v[84:87]// 0000000072C8: D3F30054 0D538180
	buffer_load_dwordx4 a[40:43], v36, s[24:27], 0 offen offset:2048// 0000000072D0: E05C1800 80862824
	v_mfma_f32_16x16x32_fp8_fp8 v[84:87], a[130:131], v[194:195], v[84:87]// 0000000072D8: D3F30054 0D538582
	v_mfma_f32_16x16x32_fp8_fp8 v[84:87], a[132:133], v[196:197], v[84:87]// 0000000072E0: D3F30054 0D538984
	ds_read_b128 v[216:219], v2 offset:8448                    // 0000000072E8: D9FE2100 D8000002
	v_mfma_f32_16x16x32_fp8_fp8 v[84:87], a[134:135], v[198:199], v[84:87]// 0000000072F0: D3F30054 0D538D86
	v_mfma_f32_16x16x32_fp8_fp8 v[84:87], a[136:137], v[200:201], v[84:87]// 0000000072F8: D3F30054 0D539188
	buffer_load_dwordx4 a[44:47], v36, s[24:27], 0 offen offset:3072// 000000007300: E05C1C00 80862C24
	v_mfma_f32_16x16x32_fp8_fp8 v[84:87], a[138:139], v[202:203], v[84:87]// 000000007308: D3F30054 0D53958A
	v_mfma_f32_16x16x32_fp8_fp8 v[84:87], a[140:141], v[204:205], v[84:87]// 000000007310: D3F30054 0D53998C
	ds_read_b128 v[220:223], v2 offset:8512                    // 000000007318: D9FE2140 DC000002
	v_mfma_f32_16x16x32_fp8_fp8 v[84:87], a[142:143], v[206:207], v[84:87]// 000000007320: D3F30054 0D539D8E
	s_waitcnt vmcnt(20)                                        // 000000007328: BF8C4F74
	v_mfma_f32_16x16x32_fp8_fp8 v[88:91], a[144:145], v[176:177], v[88:91]// 00000000732C: D3F30058 0D636190
	buffer_load_dwordx4 a[48:51], v37, s[24:27], 0 offen       // 000000007334: E05C1000 80863025
	v_mfma_f32_16x16x32_fp8_fp8 v[88:91], a[146:147], v[178:179], v[88:91]// 00000000733C: D3F30058 0D636592
	v_mfma_f32_16x16x32_fp8_fp8 v[88:91], a[148:149], v[180:181], v[88:91]// 000000007344: D3F30058 0D636994
	ds_read_b128 v[224:227], v2 offset:9344                    // 00000000734C: D9FE2480 E0000002
	v_mfma_f32_16x16x32_fp8_fp8 v[88:91], a[150:151], v[182:183], v[88:91]// 000000007354: D3F30058 0D636D96
	v_mfma_f32_16x16x32_fp8_fp8 v[88:91], a[152:153], v[184:185], v[88:91]// 00000000735C: D3F30058 0D637198
	buffer_load_dwordx4 a[52:55], v37, s[24:27], 0 offen offset:1024// 000000007364: E05C1400 80863425
	v_mfma_f32_16x16x32_fp8_fp8 v[88:91], a[154:155], v[186:187], v[88:91]// 00000000736C: D3F30058 0D63759A
	v_mfma_f32_16x16x32_fp8_fp8 v[88:91], a[156:157], v[188:189], v[88:91]// 000000007374: D3F30058 0D63799C
	ds_read_b128 v[228:231], v2 offset:9408                    // 00000000737C: D9FE24C0 E4000002
	v_mfma_f32_16x16x32_fp8_fp8 v[88:91], a[158:159], v[190:191], v[88:91]// 000000007384: D3F30058 0D637D9E
	v_mfma_f32_16x16x32_fp8_fp8 v[92:95], a[144:145], v[192:193], v[92:95]// 00000000738C: D3F3005C 0D738190
	buffer_load_dwordx4 a[56:59], v37, s[24:27], 0 offen offset:2048// 000000007394: E05C1800 80863825
	v_mfma_f32_16x16x32_fp8_fp8 v[92:95], a[146:147], v[194:195], v[92:95]// 00000000739C: D3F3005C 0D738592
	v_mfma_f32_16x16x32_fp8_fp8 v[92:95], a[148:149], v[196:197], v[92:95]// 0000000073A4: D3F3005C 0D738994
	ds_read_b128 v[232:235], v2 offset:9472                    // 0000000073AC: D9FE2500 E8000002
	v_mfma_f32_16x16x32_fp8_fp8 v[92:95], a[150:151], v[198:199], v[92:95]// 0000000073B4: D3F3005C 0D738D96
	v_mfma_f32_16x16x32_fp8_fp8 v[92:95], a[152:153], v[200:201], v[92:95]// 0000000073BC: D3F3005C 0D739198
	buffer_load_dwordx4 a[60:63], v37, s[24:27], 0 offen offset:3072// 0000000073C4: E05C1C00 80863C25
	v_mfma_f32_16x16x32_fp8_fp8 v[92:95], a[154:155], v[202:203], v[92:95]// 0000000073CC: D3F3005C 0D73959A
	v_mfma_f32_16x16x32_fp8_fp8 v[92:95], a[156:157], v[204:205], v[92:95]// 0000000073D4: D3F3005C 0D73999C
	ds_read_b128 v[236:239], v2 offset:9536                    // 0000000073DC: D9FE2540 EC000002
	v_mfma_f32_16x16x32_fp8_fp8 v[92:95], a[158:159], v[206:207], v[92:95]// 0000000073E4: D3F3005C 0D739D9E
	s_waitcnt vmcnt(20)                                        // 0000000073EC: BF8C4F74
	v_mfma_f32_16x16x32_fp8_fp8 v[96:99], a[160:161], v[176:177], v[96:99]// 0000000073F0: D3F30060 0D8361A0
	buffer_load_dwordx4 a[64:67], v38, s[24:27], 0 offen       // 0000000073F8: E05C1000 80864026
	v_mfma_f32_16x16x32_fp8_fp8 v[96:99], a[162:163], v[178:179], v[96:99]// 000000007400: D3F30060 0D8365A2
	v_mfma_f32_16x16x32_fp8_fp8 v[96:99], a[164:165], v[180:181], v[96:99]// 000000007408: D3F30060 0D8369A4
	v_mfma_f32_16x16x32_fp8_fp8 v[96:99], a[166:167], v[182:183], v[96:99]// 000000007410: D3F30060 0D836DA6
	v_mfma_f32_16x16x32_fp8_fp8 v[96:99], a[168:169], v[184:185], v[96:99]// 000000007418: D3F30060 0D8371A8
	buffer_load_dwordx4 a[68:71], v38, s[24:27], 0 offen offset:1024// 000000007420: E05C1400 80864426
	v_mfma_f32_16x16x32_fp8_fp8 v[96:99], a[170:171], v[186:187], v[96:99]// 000000007428: D3F30060 0D8375AA
	v_mfma_f32_16x16x32_fp8_fp8 v[96:99], a[172:173], v[188:189], v[96:99]// 000000007430: D3F30060 0D8379AC
	v_mfma_f32_16x16x32_fp8_fp8 v[96:99], a[174:175], v[190:191], v[96:99]// 000000007438: D3F30060 0D837DAE
	v_mfma_f32_16x16x32_fp8_fp8 v[100:103], a[160:161], v[192:193], v[100:103]// 000000007440: D3F30064 0D9381A0
	buffer_load_dwordx4 a[72:75], v38, s[24:27], 0 offen offset:2048// 000000007448: E05C1800 80864826
	v_mfma_f32_16x16x32_fp8_fp8 v[100:103], a[162:163], v[194:195], v[100:103]// 000000007450: D3F30064 0D9385A2
	v_mfma_f32_16x16x32_fp8_fp8 v[100:103], a[164:165], v[196:197], v[100:103]// 000000007458: D3F30064 0D9389A4
	v_mfma_f32_16x16x32_fp8_fp8 v[100:103], a[166:167], v[198:199], v[100:103]// 000000007460: D3F30064 0D938DA6
	v_mfma_f32_16x16x32_fp8_fp8 v[100:103], a[168:169], v[200:201], v[100:103]// 000000007468: D3F30064 0D9391A8
	buffer_load_dwordx4 a[76:79], v38, s[24:27], 0 offen offset:3072// 000000007470: E05C1C00 80864C26
	v_mfma_f32_16x16x32_fp8_fp8 v[100:103], a[170:171], v[202:203], v[100:103]// 000000007478: D3F30064 0D9395AA
	v_mfma_f32_16x16x32_fp8_fp8 v[100:103], a[172:173], v[204:205], v[100:103]// 000000007480: D3F30064 0D9399AC
	v_mfma_f32_16x16x32_fp8_fp8 v[100:103], a[174:175], v[206:207], v[100:103]// 000000007488: D3F30064 0D939DAE
	s_waitcnt vmcnt(20)                                        // 000000007490: BF8C4F74
	v_mfma_f32_16x16x32_fp8_fp8 v[104:107], a[176:177], v[176:177], v[104:107]// 000000007494: D3F30068 0DA361B0
	buffer_load_dwordx4 a[80:83], v39, s[24:27], 0 offen       // 00000000749C: E05C1000 80865027
	v_mfma_f32_16x16x32_fp8_fp8 v[104:107], a[178:179], v[178:179], v[104:107]// 0000000074A4: D3F30068 0DA365B2
	v_mfma_f32_16x16x32_fp8_fp8 v[104:107], a[180:181], v[180:181], v[104:107]// 0000000074AC: D3F30068 0DA369B4
	v_mfma_f32_16x16x32_fp8_fp8 v[104:107], a[182:183], v[182:183], v[104:107]// 0000000074B4: D3F30068 0DA36DB6
	v_mfma_f32_16x16x32_fp8_fp8 v[104:107], a[184:185], v[184:185], v[104:107]// 0000000074BC: D3F30068 0DA371B8
	buffer_load_dwordx4 a[84:87], v39, s[24:27], 0 offen offset:1024// 0000000074C4: E05C1400 80865427
	v_mfma_f32_16x16x32_fp8_fp8 v[104:107], a[186:187], v[186:187], v[104:107]// 0000000074CC: D3F30068 0DA375BA
	v_mfma_f32_16x16x32_fp8_fp8 v[104:107], a[188:189], v[188:189], v[104:107]// 0000000074D4: D3F30068 0DA379BC
	v_mfma_f32_16x16x32_fp8_fp8 v[104:107], a[190:191], v[190:191], v[104:107]// 0000000074DC: D3F30068 0DA37DBE
	v_mfma_f32_16x16x32_fp8_fp8 v[108:111], a[176:177], v[192:193], v[108:111]// 0000000074E4: D3F3006C 0DB381B0
	buffer_load_dwordx4 a[88:91], v39, s[24:27], 0 offen offset:2048// 0000000074EC: E05C1800 80865827
	v_mfma_f32_16x16x32_fp8_fp8 v[108:111], a[178:179], v[194:195], v[108:111]// 0000000074F4: D3F3006C 0DB385B2
	v_mfma_f32_16x16x32_fp8_fp8 v[108:111], a[180:181], v[196:197], v[108:111]// 0000000074FC: D3F3006C 0DB389B4
	v_mfma_f32_16x16x32_fp8_fp8 v[108:111], a[182:183], v[198:199], v[108:111]// 000000007504: D3F3006C 0DB38DB6
	v_mfma_f32_16x16x32_fp8_fp8 v[108:111], a[184:185], v[200:201], v[108:111]// 00000000750C: D3F3006C 0DB391B8
	buffer_load_dwordx4 a[92:95], v39, s[24:27], 0 offen offset:3072// 000000007514: E05C1C00 80865C27
	v_mfma_f32_16x16x32_fp8_fp8 v[108:111], a[186:187], v[202:203], v[108:111]// 00000000751C: D3F3006C 0DB395BA
	v_mfma_f32_16x16x32_fp8_fp8 v[108:111], a[188:189], v[204:205], v[108:111]// 000000007524: D3F3006C 0DB399BC
	v_mfma_f32_16x16x32_fp8_fp8 v[108:111], a[190:191], v[206:207], v[108:111]// 00000000752C: D3F3006C 0DB39DBE
	s_add_u32 s60, 0x200, s80                                  // 000000007534: 803C50FF 00000200
	s_cmp_lt_u32 s60, s81                                      // 00000000753C: BF0A513C
	s_cselect_b32 s57, s57, 0                                  // 000000007540: 85398039
	s_add_u32 s60, 0x200, s80                                  // 000000007544: 803C50FF 00000200
	s_cmp_lt_u32 s60, s81                                      // 00000000754C: BF0A513C
	s_cselect_b32 s58, s58, 0                                  // 000000007550: 853A803A
	s_add_u32 s20, s57, s20                                    // 000000007554: 80141439
	s_addc_u32 s21, 0, s21                                     // 000000007558: 82151580
	s_add_u32 s24, s58, s24                                    // 00000000755C: 8018183A
	s_addc_u32 s25, 0, s25                                     // 000000007560: 82191980
	s_add_u32 s92, s90, s92                                    // 000000007564: 805C5C5A
	s_addc_u32 s93, 0, s93                                     // 000000007568: 825D5D80
	s_addk_i32 s80, 0x100                                      // 00000000756C: B7500100
	s_cmp_lt_i32 s80, s81                                      // 000000007570: BF045150
	s_cbranch_scc0 label_140B                                  // 000000007574: BF84022D
	s_waitcnt vmcnt(16) lgkmcnt(0)                             // 000000007578: BF8C4070
	s_barrier                                                  // 00000000757C: BF8A0000
	v_mfma_f32_16x16x32_fp8_fp8 v[128:131], a[0:1], v[208:209], v[128:131]// 000000007580: D3F30080 0E03A100
	buffer_load_dwordx4 a[96:99], v34, s[92:95], 0 offen       // 000000007588: E05C1000 80976022
	v_mfma_f32_16x16x32_fp8_fp8 v[128:131], a[2:3], v[210:211], v[128:131]// 000000007590: D3F30080 0E03A502
	v_mfma_f32_16x16x32_fp8_fp8 v[128:131], a[4:5], v[212:213], v[128:131]// 000000007598: D3F30080 0E03A904
	buffer_load_dword v26, s[20:23], 0 offen lds               // 0000000075A0: E0511000 8005001A
	s_add_u32 m0, 0x100, s50                                   // 0000000075A8: 807C32FF 00000100
	v_mfma_f32_16x16x32_fp8_fp8 v[128:131], a[6:7], v[214:215], v[128:131]// 0000000075B0: D3F30080 0E03AD06
	v_mfma_f32_16x16x32_fp8_fp8 v[128:131], a[8:9], v[216:217], v[128:131]// 0000000075B8: D3F30080 0E03B108
	buffer_load_dwordx4 a[100:103], v34, s[92:95], 0 offen offset:1024// 0000000075C0: E05C1400 80976422
	v_mfma_f32_16x16x32_fp8_fp8 v[128:131], a[10:11], v[218:219], v[128:131]// 0000000075C8: D3F30080 0E03B50A
	v_mfma_f32_16x16x32_fp8_fp8 v[128:131], a[12:13], v[220:221], v[128:131]// 0000000075D0: D3F30080 0E03B90C
	buffer_load_dword v27, s[20:23], 0 offen lds               // 0000000075D8: E0511000 8005001B
	s_add_u32 m0, 0x200, s50                                   // 0000000075E0: 807C32FF 00000200
	v_mfma_f32_16x16x32_fp8_fp8 v[128:131], a[14:15], v[222:223], v[128:131]// 0000000075E8: D3F30080 0E03BD0E
	v_mfma_f32_16x16x32_fp8_fp8 v[132:135], a[0:1], v[224:225], v[132:135]// 0000000075F0: D3F30084 0E13C100
	buffer_load_dwordx4 a[104:107], v34, s[92:95], 0 offen offset:2048// 0000000075F8: E05C1800 80976822
	v_mfma_f32_16x16x32_fp8_fp8 v[132:135], a[2:3], v[226:227], v[132:135]// 000000007600: D3F30084 0E13C502
	v_mfma_f32_16x16x32_fp8_fp8 v[132:135], a[4:5], v[228:229], v[132:135]// 000000007608: D3F30084 0E13C904
	buffer_load_dword v28, s[20:23], 0 offen lds               // 000000007610: E0511000 8005001C
	s_add_u32 m0, 0x300, s50                                   // 000000007618: 807C32FF 00000300
	v_mfma_f32_16x16x32_fp8_fp8 v[132:135], a[6:7], v[230:231], v[132:135]// 000000007620: D3F30084 0E13CD06
	v_mfma_f32_16x16x32_fp8_fp8 v[132:135], a[8:9], v[232:233], v[132:135]// 000000007628: D3F30084 0E13D108
	buffer_load_dwordx4 a[108:111], v34, s[92:95], 0 offen offset:3072// 000000007630: E05C1C00 80976C22
	v_mfma_f32_16x16x32_fp8_fp8 v[132:135], a[10:11], v[234:235], v[132:135]// 000000007638: D3F30084 0E13D50A
	v_mfma_f32_16x16x32_fp8_fp8 v[132:135], a[12:13], v[236:237], v[132:135]// 000000007640: D3F30084 0E13D90C
	buffer_load_dword v29, s[20:23], 0 offen lds               // 000000007648: E0511000 8005001D
	s_add_u32 m0, 0x400, s50                                   // 000000007650: 807C32FF 00000400
	v_mfma_f32_16x16x32_fp8_fp8 v[132:135], a[14:15], v[238:239], v[132:135]// 000000007658: D3F30084 0E13DD0E
	v_mfma_f32_16x16x32_fp8_fp8 v[136:139], a[16:17], v[208:209], v[136:139]// 000000007660: D3F30088 0E23A110
	buffer_load_dwordx4 a[112:115], v35, s[92:95], 0 offen     // 000000007668: E05C1000 80977023
	v_mfma_f32_16x16x32_fp8_fp8 v[136:139], a[18:19], v[210:211], v[136:139]// 000000007670: D3F30088 0E23A512
	v_mfma_f32_16x16x32_fp8_fp8 v[136:139], a[20:21], v[212:213], v[136:139]// 000000007678: D3F30088 0E23A914
	buffer_load_dword v30, s[20:23], 0 offen lds               // 000000007680: E0511000 8005001E
	s_add_u32 m0, 0x500, s50                                   // 000000007688: 807C32FF 00000500
	v_mfma_f32_16x16x32_fp8_fp8 v[136:139], a[22:23], v[214:215], v[136:139]// 000000007690: D3F30088 0E23AD16
	v_mfma_f32_16x16x32_fp8_fp8 v[136:139], a[24:25], v[216:217], v[136:139]// 000000007698: D3F30088 0E23B118
	buffer_load_dwordx4 a[116:119], v35, s[92:95], 0 offen offset:1024// 0000000076A0: E05C1400 80977423
	v_mfma_f32_16x16x32_fp8_fp8 v[136:139], a[26:27], v[218:219], v[136:139]// 0000000076A8: D3F30088 0E23B51A
	v_mfma_f32_16x16x32_fp8_fp8 v[136:139], a[28:29], v[220:221], v[136:139]// 0000000076B0: D3F30088 0E23B91C
	buffer_load_dword v31, s[20:23], 0 offen lds               // 0000000076B8: E0511000 8005001F
	s_add_u32 m0, 0x600, s50                                   // 0000000076C0: 807C32FF 00000600
	v_mfma_f32_16x16x32_fp8_fp8 v[136:139], a[30:31], v[222:223], v[136:139]// 0000000076C8: D3F30088 0E23BD1E
	v_mfma_f32_16x16x32_fp8_fp8 v[140:143], a[16:17], v[224:225], v[140:143]// 0000000076D0: D3F3008C 0E33C110
	buffer_load_dwordx4 a[120:123], v35, s[92:95], 0 offen offset:2048// 0000000076D8: E05C1800 80977823
	v_mfma_f32_16x16x32_fp8_fp8 v[140:143], a[18:19], v[226:227], v[140:143]// 0000000076E0: D3F3008C 0E33C512
	v_mfma_f32_16x16x32_fp8_fp8 v[140:143], a[20:21], v[228:229], v[140:143]// 0000000076E8: D3F3008C 0E33C914
	buffer_load_dword v32, s[20:23], 0 offen lds               // 0000000076F0: E0511000 80050020
	s_add_u32 m0, 0x700, s50                                   // 0000000076F8: 807C32FF 00000700
	v_mfma_f32_16x16x32_fp8_fp8 v[140:143], a[22:23], v[230:231], v[140:143]// 000000007700: D3F3008C 0E33CD16
	v_mfma_f32_16x16x32_fp8_fp8 v[140:143], a[24:25], v[232:233], v[140:143]// 000000007708: D3F3008C 0E33D118
	buffer_load_dwordx4 a[124:127], v35, s[92:95], 0 offen offset:3072// 000000007710: E05C1C00 80977C23
	v_mfma_f32_16x16x32_fp8_fp8 v[140:143], a[26:27], v[234:235], v[140:143]// 000000007718: D3F3008C 0E33D51A
	v_mfma_f32_16x16x32_fp8_fp8 v[140:143], a[28:29], v[236:237], v[140:143]// 000000007720: D3F3008C 0E33D91C
	buffer_load_dword v33, s[20:23], 0 offen lds               // 000000007728: E0511000 80050021
	s_add_u32 m0, 0, s51                                       // 000000007730: 807C3380
	v_mfma_f32_16x16x32_fp8_fp8 v[140:143], a[30:31], v[238:239], v[140:143]// 000000007734: D3F3008C 0E33DD1E
	s_waitcnt vmcnt(28)                                        // 00000000773C: BF8C4F7C
	v_mfma_f32_16x16x32_fp8_fp8 v[144:147], a[32:33], v[208:209], v[144:147]// 000000007740: D3F30090 0E43A120
	buffer_load_dwordx4 a[128:131], v36, s[92:95], 0 offen     // 000000007748: E05C1000 80978024
	v_mfma_f32_16x16x32_fp8_fp8 v[144:147], a[34:35], v[210:211], v[144:147]// 000000007750: D3F30090 0E43A522
	v_mfma_f32_16x16x32_fp8_fp8 v[144:147], a[36:37], v[212:213], v[144:147]// 000000007758: D3F30090 0E43A924
	v_mfma_f32_16x16x32_fp8_fp8 v[144:147], a[38:39], v[214:215], v[144:147]// 000000007760: D3F30090 0E43AD26
	v_mfma_f32_16x16x32_fp8_fp8 v[144:147], a[40:41], v[216:217], v[144:147]// 000000007768: D3F30090 0E43B128
	buffer_load_dwordx4 a[132:135], v36, s[92:95], 0 offen offset:1024// 000000007770: E05C1400 80978424
	v_mfma_f32_16x16x32_fp8_fp8 v[144:147], a[42:43], v[218:219], v[144:147]// 000000007778: D3F30090 0E43B52A
	v_mfma_f32_16x16x32_fp8_fp8 v[144:147], a[44:45], v[220:221], v[144:147]// 000000007780: D3F30090 0E43B92C
	v_mfma_f32_16x16x32_fp8_fp8 v[144:147], a[46:47], v[222:223], v[144:147]// 000000007788: D3F30090 0E43BD2E
	v_mfma_f32_16x16x32_fp8_fp8 v[148:151], a[32:33], v[224:225], v[148:151]// 000000007790: D3F30094 0E53C120
	buffer_load_dwordx4 a[136:139], v36, s[92:95], 0 offen offset:2048// 000000007798: E05C1800 80978824
	v_mfma_f32_16x16x32_fp8_fp8 v[148:151], a[34:35], v[226:227], v[148:151]// 0000000077A0: D3F30094 0E53C522
	v_mfma_f32_16x16x32_fp8_fp8 v[148:151], a[36:37], v[228:229], v[148:151]// 0000000077A8: D3F30094 0E53C924
	v_mfma_f32_16x16x32_fp8_fp8 v[148:151], a[38:39], v[230:231], v[148:151]// 0000000077B0: D3F30094 0E53CD26
	v_mfma_f32_16x16x32_fp8_fp8 v[148:151], a[40:41], v[232:233], v[148:151]// 0000000077B8: D3F30094 0E53D128
	buffer_load_dwordx4 a[140:143], v36, s[92:95], 0 offen offset:3072// 0000000077C0: E05C1C00 80978C24
	v_mfma_f32_16x16x32_fp8_fp8 v[148:151], a[42:43], v[234:235], v[148:151]// 0000000077C8: D3F30094 0E53D52A
	v_mfma_f32_16x16x32_fp8_fp8 v[148:151], a[44:45], v[236:237], v[148:151]// 0000000077D0: D3F30094 0E53D92C
	v_mfma_f32_16x16x32_fp8_fp8 v[148:151], a[46:47], v[238:239], v[148:151]// 0000000077D8: D3F30094 0E53DD2E
	s_waitcnt vmcnt(28)                                        // 0000000077E0: BF8C4F7C
	v_mfma_f32_16x16x32_fp8_fp8 v[152:155], a[48:49], v[208:209], v[152:155]// 0000000077E4: D3F30098 0E63A130
	buffer_load_dwordx4 a[144:147], v37, s[92:95], 0 offen     // 0000000077EC: E05C1000 80979025
	v_mfma_f32_16x16x32_fp8_fp8 v[152:155], a[50:51], v[210:211], v[152:155]// 0000000077F4: D3F30098 0E63A532
	v_mfma_f32_16x16x32_fp8_fp8 v[152:155], a[52:53], v[212:213], v[152:155]// 0000000077FC: D3F30098 0E63A934
	v_mfma_f32_16x16x32_fp8_fp8 v[152:155], a[54:55], v[214:215], v[152:155]// 000000007804: D3F30098 0E63AD36
	v_mfma_f32_16x16x32_fp8_fp8 v[152:155], a[56:57], v[216:217], v[152:155]// 00000000780C: D3F30098 0E63B138
	buffer_load_dwordx4 a[148:151], v37, s[92:95], 0 offen offset:1024// 000000007814: E05C1400 80979425
	v_mfma_f32_16x16x32_fp8_fp8 v[152:155], a[58:59], v[218:219], v[152:155]// 00000000781C: D3F30098 0E63B53A
	v_mfma_f32_16x16x32_fp8_fp8 v[152:155], a[60:61], v[220:221], v[152:155]// 000000007824: D3F30098 0E63B93C
	v_mfma_f32_16x16x32_fp8_fp8 v[152:155], a[62:63], v[222:223], v[152:155]// 00000000782C: D3F30098 0E63BD3E
	v_mfma_f32_16x16x32_fp8_fp8 v[156:159], a[48:49], v[224:225], v[156:159]// 000000007834: D3F3009C 0E73C130
	buffer_load_dwordx4 a[152:155], v37, s[92:95], 0 offen offset:2048// 00000000783C: E05C1800 80979825
	v_mfma_f32_16x16x32_fp8_fp8 v[156:159], a[50:51], v[226:227], v[156:159]// 000000007844: D3F3009C 0E73C532
	v_mfma_f32_16x16x32_fp8_fp8 v[156:159], a[52:53], v[228:229], v[156:159]// 00000000784C: D3F3009C 0E73C934
	v_mfma_f32_16x16x32_fp8_fp8 v[156:159], a[54:55], v[230:231], v[156:159]// 000000007854: D3F3009C 0E73CD36
	v_mfma_f32_16x16x32_fp8_fp8 v[156:159], a[56:57], v[232:233], v[156:159]// 00000000785C: D3F3009C 0E73D138
	buffer_load_dwordx4 a[156:159], v37, s[92:95], 0 offen offset:3072// 000000007864: E05C1C00 80979C25
	v_mfma_f32_16x16x32_fp8_fp8 v[156:159], a[58:59], v[234:235], v[156:159]// 00000000786C: D3F3009C 0E73D53A
	v_mfma_f32_16x16x32_fp8_fp8 v[156:159], a[60:61], v[236:237], v[156:159]// 000000007874: D3F3009C 0E73D93C
	v_mfma_f32_16x16x32_fp8_fp8 v[156:159], a[62:63], v[238:239], v[156:159]// 00000000787C: D3F3009C 0E73DD3E
	s_waitcnt vmcnt(28)                                        // 000000007884: BF8C4F7C
	v_mfma_f32_16x16x32_fp8_fp8 v[160:163], a[64:65], v[208:209], v[160:163]// 000000007888: D3F300A0 0E83A140
	buffer_load_dwordx4 a[160:163], v38, s[92:95], 0 offen     // 000000007890: E05C1000 8097A026
	v_mfma_f32_16x16x32_fp8_fp8 v[160:163], a[66:67], v[210:211], v[160:163]// 000000007898: D3F300A0 0E83A542
	v_mfma_f32_16x16x32_fp8_fp8 v[160:163], a[68:69], v[212:213], v[160:163]// 0000000078A0: D3F300A0 0E83A944
	v_mfma_f32_16x16x32_fp8_fp8 v[160:163], a[70:71], v[214:215], v[160:163]// 0000000078A8: D3F300A0 0E83AD46
	v_mfma_f32_16x16x32_fp8_fp8 v[160:163], a[72:73], v[216:217], v[160:163]// 0000000078B0: D3F300A0 0E83B148
	buffer_load_dwordx4 a[164:167], v38, s[92:95], 0 offen offset:1024// 0000000078B8: E05C1400 8097A426
	v_mfma_f32_16x16x32_fp8_fp8 v[160:163], a[74:75], v[218:219], v[160:163]// 0000000078C0: D3F300A0 0E83B54A
	v_mfma_f32_16x16x32_fp8_fp8 v[160:163], a[76:77], v[220:221], v[160:163]// 0000000078C8: D3F300A0 0E83B94C
	v_mfma_f32_16x16x32_fp8_fp8 v[160:163], a[78:79], v[222:223], v[160:163]// 0000000078D0: D3F300A0 0E83BD4E
	v_mfma_f32_16x16x32_fp8_fp8 v[164:167], a[64:65], v[224:225], v[164:167]// 0000000078D8: D3F300A4 0E93C140
	buffer_load_dwordx4 a[168:171], v38, s[92:95], 0 offen offset:2048// 0000000078E0: E05C1800 8097A826
	v_mfma_f32_16x16x32_fp8_fp8 v[164:167], a[66:67], v[226:227], v[164:167]// 0000000078E8: D3F300A4 0E93C542
	v_mfma_f32_16x16x32_fp8_fp8 v[164:167], a[68:69], v[228:229], v[164:167]// 0000000078F0: D3F300A4 0E93C944
	v_mfma_f32_16x16x32_fp8_fp8 v[164:167], a[70:71], v[230:231], v[164:167]// 0000000078F8: D3F300A4 0E93CD46
	v_mfma_f32_16x16x32_fp8_fp8 v[164:167], a[72:73], v[232:233], v[164:167]// 000000007900: D3F300A4 0E93D148
	buffer_load_dwordx4 a[172:175], v38, s[92:95], 0 offen offset:3072// 000000007908: E05C1C00 8097AC26
	v_mfma_f32_16x16x32_fp8_fp8 v[164:167], a[74:75], v[234:235], v[164:167]// 000000007910: D3F300A4 0E93D54A
	v_mfma_f32_16x16x32_fp8_fp8 v[164:167], a[76:77], v[236:237], v[164:167]// 000000007918: D3F300A4 0E93D94C
	v_mfma_f32_16x16x32_fp8_fp8 v[164:167], a[78:79], v[238:239], v[164:167]// 000000007920: D3F300A4 0E93DD4E
	s_waitcnt vmcnt(28)                                        // 000000007928: BF8C4F7C
	v_mfma_f32_16x16x32_fp8_fp8 v[168:171], a[80:81], v[208:209], v[168:171]// 00000000792C: D3F300A8 0EA3A150
	buffer_load_dwordx4 a[176:179], v39, s[92:95], 0 offen     // 000000007934: E05C1000 8097B027
	v_mfma_f32_16x16x32_fp8_fp8 v[168:171], a[82:83], v[210:211], v[168:171]// 00000000793C: D3F300A8 0EA3A552
	v_mfma_f32_16x16x32_fp8_fp8 v[168:171], a[84:85], v[212:213], v[168:171]// 000000007944: D3F300A8 0EA3A954
	v_mfma_f32_16x16x32_fp8_fp8 v[168:171], a[86:87], v[214:215], v[168:171]// 00000000794C: D3F300A8 0EA3AD56
	v_mfma_f32_16x16x32_fp8_fp8 v[168:171], a[88:89], v[216:217], v[168:171]// 000000007954: D3F300A8 0EA3B158
	buffer_load_dwordx4 a[180:183], v39, s[92:95], 0 offen offset:1024// 00000000795C: E05C1400 8097B427
	v_mfma_f32_16x16x32_fp8_fp8 v[168:171], a[90:91], v[218:219], v[168:171]// 000000007964: D3F300A8 0EA3B55A
	v_mfma_f32_16x16x32_fp8_fp8 v[168:171], a[92:93], v[220:221], v[168:171]// 00000000796C: D3F300A8 0EA3B95C
	v_mfma_f32_16x16x32_fp8_fp8 v[168:171], a[94:95], v[222:223], v[168:171]// 000000007974: D3F300A8 0EA3BD5E
	v_mfma_f32_16x16x32_fp8_fp8 v[172:175], a[80:81], v[224:225], v[172:175]// 00000000797C: D3F300AC 0EB3C150
	buffer_load_dwordx4 a[184:187], v39, s[92:95], 0 offen offset:2048// 000000007984: E05C1800 8097B827
	v_mfma_f32_16x16x32_fp8_fp8 v[172:175], a[82:83], v[226:227], v[172:175]// 00000000798C: D3F300AC 0EB3C552
	v_mfma_f32_16x16x32_fp8_fp8 v[172:175], a[84:85], v[228:229], v[172:175]// 000000007994: D3F300AC 0EB3C954
	v_mfma_f32_16x16x32_fp8_fp8 v[172:175], a[86:87], v[230:231], v[172:175]// 00000000799C: D3F300AC 0EB3CD56
	v_mfma_f32_16x16x32_fp8_fp8 v[172:175], a[88:89], v[232:233], v[172:175]// 0000000079A4: D3F300AC 0EB3D158
	buffer_load_dwordx4 a[188:191], v39, s[92:95], 0 offen offset:3072// 0000000079AC: E05C1C00 8097BC27
	v_mfma_f32_16x16x32_fp8_fp8 v[172:175], a[90:91], v[234:235], v[172:175]// 0000000079B4: D3F300AC 0EB3D55A
	v_mfma_f32_16x16x32_fp8_fp8 v[172:175], a[92:93], v[236:237], v[172:175]// 0000000079BC: D3F300AC 0EB3D95C
	v_mfma_f32_16x16x32_fp8_fp8 v[172:175], a[94:95], v[238:239], v[172:175]// 0000000079C4: D3F300AC 0EB3DD5E
	s_waitcnt vmcnt(16)                                        // 0000000079CC: BF8C4F70
	s_barrier                                                  // 0000000079D0: BF8A0000
	v_mfma_f32_16x16x32_fp8_fp8 v[64:67], a[96:97], v[208:209], v[64:67]// 0000000079D4: D3F30040 0D03A160
	buffer_load_dwordx4 a[0:3], v34, s[24:27], 0 offen         // 0000000079DC: E05C1000 80860022
	v_mfma_f32_16x16x32_fp8_fp8 v[64:67], a[98:99], v[210:211], v[64:67]// 0000000079E4: D3F30040 0D03A562
	v_mfma_f32_16x16x32_fp8_fp8 v[64:67], a[100:101], v[212:213], v[64:67]// 0000000079EC: D3F30040 0D03A964
	v_mfma_f32_16x16x32_fp8_fp8 v[64:67], a[102:103], v[214:215], v[64:67]// 0000000079F4: D3F30040 0D03AD66
	v_mfma_f32_16x16x32_fp8_fp8 v[64:67], a[104:105], v[216:217], v[64:67]// 0000000079FC: D3F30040 0D03B168
	buffer_load_dwordx4 a[4:7], v34, s[24:27], 0 offen offset:1024// 000000007A04: E05C1400 80860422
	v_mfma_f32_16x16x32_fp8_fp8 v[64:67], a[106:107], v[218:219], v[64:67]// 000000007A0C: D3F30040 0D03B56A
	v_mfma_f32_16x16x32_fp8_fp8 v[64:67], a[108:109], v[220:221], v[64:67]// 000000007A14: D3F30040 0D03B96C
	v_mfma_f32_16x16x32_fp8_fp8 v[64:67], a[110:111], v[222:223], v[64:67]// 000000007A1C: D3F30040 0D03BD6E
	v_mfma_f32_16x16x32_fp8_fp8 v[68:71], a[96:97], v[224:225], v[68:71]// 000000007A24: D3F30044 0D13C160
	buffer_load_dwordx4 a[8:11], v34, s[24:27], 0 offen offset:2048// 000000007A2C: E05C1800 80860822
	v_mfma_f32_16x16x32_fp8_fp8 v[68:71], a[98:99], v[226:227], v[68:71]// 000000007A34: D3F30044 0D13C562
	v_mfma_f32_16x16x32_fp8_fp8 v[68:71], a[100:101], v[228:229], v[68:71]// 000000007A3C: D3F30044 0D13C964
	v_mfma_f32_16x16x32_fp8_fp8 v[68:71], a[102:103], v[230:231], v[68:71]// 000000007A44: D3F30044 0D13CD66
	v_mfma_f32_16x16x32_fp8_fp8 v[68:71], a[104:105], v[232:233], v[68:71]// 000000007A4C: D3F30044 0D13D168
	buffer_load_dwordx4 a[12:15], v34, s[24:27], 0 offen offset:3072// 000000007A54: E05C1C00 80860C22
	v_mfma_f32_16x16x32_fp8_fp8 v[68:71], a[106:107], v[234:235], v[68:71]// 000000007A5C: D3F30044 0D13D56A
	v_mfma_f32_16x16x32_fp8_fp8 v[68:71], a[108:109], v[236:237], v[68:71]// 000000007A64: D3F30044 0D13D96C
	v_mfma_f32_16x16x32_fp8_fp8 v[68:71], a[110:111], v[238:239], v[68:71]// 000000007A6C: D3F30044 0D13DD6E
	v_mfma_f32_16x16x32_fp8_fp8 v[72:75], a[112:113], v[208:209], v[72:75]// 000000007A74: D3F30048 0D23A170
	buffer_load_dwordx4 a[16:19], v35, s[24:27], 0 offen       // 000000007A7C: E05C1000 80861023
	v_mfma_f32_16x16x32_fp8_fp8 v[72:75], a[114:115], v[210:211], v[72:75]// 000000007A84: D3F30048 0D23A572
	v_mfma_f32_16x16x32_fp8_fp8 v[72:75], a[116:117], v[212:213], v[72:75]// 000000007A8C: D3F30048 0D23A974
	v_mfma_f32_16x16x32_fp8_fp8 v[72:75], a[118:119], v[214:215], v[72:75]// 000000007A94: D3F30048 0D23AD76
	v_mfma_f32_16x16x32_fp8_fp8 v[72:75], a[120:121], v[216:217], v[72:75]// 000000007A9C: D3F30048 0D23B178
	buffer_load_dwordx4 a[20:23], v35, s[24:27], 0 offen offset:1024// 000000007AA4: E05C1400 80861423
	v_mfma_f32_16x16x32_fp8_fp8 v[72:75], a[122:123], v[218:219], v[72:75]// 000000007AAC: D3F30048 0D23B57A
	v_mfma_f32_16x16x32_fp8_fp8 v[72:75], a[124:125], v[220:221], v[72:75]// 000000007AB4: D3F30048 0D23B97C
	v_mfma_f32_16x16x32_fp8_fp8 v[72:75], a[126:127], v[222:223], v[72:75]// 000000007ABC: D3F30048 0D23BD7E
	v_mfma_f32_16x16x32_fp8_fp8 v[76:79], a[112:113], v[224:225], v[76:79]// 000000007AC4: D3F3004C 0D33C170
	buffer_load_dwordx4 a[24:27], v35, s[24:27], 0 offen offset:2048// 000000007ACC: E05C1800 80861823
	v_mfma_f32_16x16x32_fp8_fp8 v[76:79], a[114:115], v[226:227], v[76:79]// 000000007AD4: D3F3004C 0D33C572
	v_mfma_f32_16x16x32_fp8_fp8 v[76:79], a[116:117], v[228:229], v[76:79]// 000000007ADC: D3F3004C 0D33C974
	v_mfma_f32_16x16x32_fp8_fp8 v[76:79], a[118:119], v[230:231], v[76:79]// 000000007AE4: D3F3004C 0D33CD76
	v_mfma_f32_16x16x32_fp8_fp8 v[76:79], a[120:121], v[232:233], v[76:79]// 000000007AEC: D3F3004C 0D33D178
	buffer_load_dwordx4 a[28:31], v35, s[24:27], 0 offen offset:3072// 000000007AF4: E05C1C00 80861C23
	v_mfma_f32_16x16x32_fp8_fp8 v[76:79], a[122:123], v[234:235], v[76:79]// 000000007AFC: D3F3004C 0D33D57A
	v_mfma_f32_16x16x32_fp8_fp8 v[76:79], a[124:125], v[236:237], v[76:79]// 000000007B04: D3F3004C 0D33D97C
	v_mfma_f32_16x16x32_fp8_fp8 v[76:79], a[126:127], v[238:239], v[76:79]// 000000007B0C: D3F3004C 0D33DD7E
	s_waitcnt vmcnt(20)                                        // 000000007B14: BF8C4F74
	v_mfma_f32_16x16x32_fp8_fp8 v[80:83], a[128:129], v[208:209], v[80:83]// 000000007B18: D3F30050 0D43A180
	buffer_load_dwordx4 a[32:35], v36, s[24:27], 0 offen       // 000000007B20: E05C1000 80862024
	v_mfma_f32_16x16x32_fp8_fp8 v[80:83], a[130:131], v[210:211], v[80:83]// 000000007B28: D3F30050 0D43A582
	v_mfma_f32_16x16x32_fp8_fp8 v[80:83], a[132:133], v[212:213], v[80:83]// 000000007B30: D3F30050 0D43A984
	ds_read_b128 v[176:179], v2                                // 000000007B38: D9FE0000 B0000002
	v_mfma_f32_16x16x32_fp8_fp8 v[80:83], a[134:135], v[214:215], v[80:83]// 000000007B40: D3F30050 0D43AD86
	v_mfma_f32_16x16x32_fp8_fp8 v[80:83], a[136:137], v[216:217], v[80:83]// 000000007B48: D3F30050 0D43B188
	buffer_load_dwordx4 a[36:39], v36, s[24:27], 0 offen offset:1024// 000000007B50: E05C1400 80862424
	v_mfma_f32_16x16x32_fp8_fp8 v[80:83], a[138:139], v[218:219], v[80:83]// 000000007B58: D3F30050 0D43B58A
	v_mfma_f32_16x16x32_fp8_fp8 v[80:83], a[140:141], v[220:221], v[80:83]// 000000007B60: D3F30050 0D43B98C
	ds_read_b128 v[180:183], v2 offset:64                      // 000000007B68: D9FE0040 B4000002
	v_mfma_f32_16x16x32_fp8_fp8 v[80:83], a[142:143], v[222:223], v[80:83]// 000000007B70: D3F30050 0D43BD8E
	v_mfma_f32_16x16x32_fp8_fp8 v[84:87], a[128:129], v[224:225], v[84:87]// 000000007B78: D3F30054 0D53C180
	buffer_load_dwordx4 a[40:43], v36, s[24:27], 0 offen offset:2048// 000000007B80: E05C1800 80862824
	v_mfma_f32_16x16x32_fp8_fp8 v[84:87], a[130:131], v[226:227], v[84:87]// 000000007B88: D3F30054 0D53C582
	v_mfma_f32_16x16x32_fp8_fp8 v[84:87], a[132:133], v[228:229], v[84:87]// 000000007B90: D3F30054 0D53C984
	ds_read_b128 v[184:187], v2 offset:128                     // 000000007B98: D9FE0080 B8000002
	v_mfma_f32_16x16x32_fp8_fp8 v[84:87], a[134:135], v[230:231], v[84:87]// 000000007BA0: D3F30054 0D53CD86
	v_mfma_f32_16x16x32_fp8_fp8 v[84:87], a[136:137], v[232:233], v[84:87]// 000000007BA8: D3F30054 0D53D188
	buffer_load_dwordx4 a[44:47], v36, s[24:27], 0 offen offset:3072// 000000007BB0: E05C1C00 80862C24
	v_mfma_f32_16x16x32_fp8_fp8 v[84:87], a[138:139], v[234:235], v[84:87]// 000000007BB8: D3F30054 0D53D58A
	v_mfma_f32_16x16x32_fp8_fp8 v[84:87], a[140:141], v[236:237], v[84:87]// 000000007BC0: D3F30054 0D53D98C
	ds_read_b128 v[188:191], v2 offset:192                     // 000000007BC8: D9FE00C0 BC000002
	v_mfma_f32_16x16x32_fp8_fp8 v[84:87], a[142:143], v[238:239], v[84:87]// 000000007BD0: D3F30054 0D53DD8E
	s_waitcnt vmcnt(20)                                        // 000000007BD8: BF8C4F74
	v_mfma_f32_16x16x32_fp8_fp8 v[88:91], a[144:145], v[208:209], v[88:91]// 000000007BDC: D3F30058 0D63A190
	buffer_load_dwordx4 a[48:51], v37, s[24:27], 0 offen       // 000000007BE4: E05C1000 80863025
	v_mfma_f32_16x16x32_fp8_fp8 v[88:91], a[146:147], v[210:211], v[88:91]// 000000007BEC: D3F30058 0D63A592
	v_mfma_f32_16x16x32_fp8_fp8 v[88:91], a[148:149], v[212:213], v[88:91]// 000000007BF4: D3F30058 0D63A994
	ds_read_b128 v[192:195], v2 offset:1024                    // 000000007BFC: D9FE0400 C0000002
	v_mfma_f32_16x16x32_fp8_fp8 v[88:91], a[150:151], v[214:215], v[88:91]// 000000007C04: D3F30058 0D63AD96
	v_mfma_f32_16x16x32_fp8_fp8 v[88:91], a[152:153], v[216:217], v[88:91]// 000000007C0C: D3F30058 0D63B198
	buffer_load_dwordx4 a[52:55], v37, s[24:27], 0 offen offset:1024// 000000007C14: E05C1400 80863425
	v_mfma_f32_16x16x32_fp8_fp8 v[88:91], a[154:155], v[218:219], v[88:91]// 000000007C1C: D3F30058 0D63B59A
	v_mfma_f32_16x16x32_fp8_fp8 v[88:91], a[156:157], v[220:221], v[88:91]// 000000007C24: D3F30058 0D63B99C
	ds_read_b128 v[196:199], v2 offset:1088                    // 000000007C2C: D9FE0440 C4000002
	v_mfma_f32_16x16x32_fp8_fp8 v[88:91], a[158:159], v[222:223], v[88:91]// 000000007C34: D3F30058 0D63BD9E
	v_mfma_f32_16x16x32_fp8_fp8 v[92:95], a[144:145], v[224:225], v[92:95]// 000000007C3C: D3F3005C 0D73C190
	buffer_load_dwordx4 a[56:59], v37, s[24:27], 0 offen offset:2048// 000000007C44: E05C1800 80863825
	v_mfma_f32_16x16x32_fp8_fp8 v[92:95], a[146:147], v[226:227], v[92:95]// 000000007C4C: D3F3005C 0D73C592
	v_mfma_f32_16x16x32_fp8_fp8 v[92:95], a[148:149], v[228:229], v[92:95]// 000000007C54: D3F3005C 0D73C994
	ds_read_b128 v[200:203], v2 offset:1152                    // 000000007C5C: D9FE0480 C8000002
	v_mfma_f32_16x16x32_fp8_fp8 v[92:95], a[150:151], v[230:231], v[92:95]// 000000007C64: D3F3005C 0D73CD96
	v_mfma_f32_16x16x32_fp8_fp8 v[92:95], a[152:153], v[232:233], v[92:95]// 000000007C6C: D3F3005C 0D73D198
	buffer_load_dwordx4 a[60:63], v37, s[24:27], 0 offen offset:3072// 000000007C74: E05C1C00 80863C25
	v_mfma_f32_16x16x32_fp8_fp8 v[92:95], a[154:155], v[234:235], v[92:95]// 000000007C7C: D3F3005C 0D73D59A
	v_mfma_f32_16x16x32_fp8_fp8 v[92:95], a[156:157], v[236:237], v[92:95]// 000000007C84: D3F3005C 0D73D99C
	ds_read_b128 v[204:207], v2 offset:1216                    // 000000007C8C: D9FE04C0 CC000002
	v_mfma_f32_16x16x32_fp8_fp8 v[92:95], a[158:159], v[238:239], v[92:95]// 000000007C94: D3F3005C 0D73DD9E
	s_waitcnt vmcnt(20)                                        // 000000007C9C: BF8C4F74
	v_mfma_f32_16x16x32_fp8_fp8 v[96:99], a[160:161], v[208:209], v[96:99]// 000000007CA0: D3F30060 0D83A1A0
	buffer_load_dwordx4 a[64:67], v38, s[24:27], 0 offen       // 000000007CA8: E05C1000 80864026
	v_mfma_f32_16x16x32_fp8_fp8 v[96:99], a[162:163], v[210:211], v[96:99]// 000000007CB0: D3F30060 0D83A5A2
	v_mfma_f32_16x16x32_fp8_fp8 v[96:99], a[164:165], v[212:213], v[96:99]// 000000007CB8: D3F30060 0D83A9A4
	v_mfma_f32_16x16x32_fp8_fp8 v[96:99], a[166:167], v[214:215], v[96:99]// 000000007CC0: D3F30060 0D83ADA6
	v_mfma_f32_16x16x32_fp8_fp8 v[96:99], a[168:169], v[216:217], v[96:99]// 000000007CC8: D3F30060 0D83B1A8
	buffer_load_dwordx4 a[68:71], v38, s[24:27], 0 offen offset:1024// 000000007CD0: E05C1400 80864426
	v_mfma_f32_16x16x32_fp8_fp8 v[96:99], a[170:171], v[218:219], v[96:99]// 000000007CD8: D3F30060 0D83B5AA
	v_mfma_f32_16x16x32_fp8_fp8 v[96:99], a[172:173], v[220:221], v[96:99]// 000000007CE0: D3F30060 0D83B9AC
	v_mfma_f32_16x16x32_fp8_fp8 v[96:99], a[174:175], v[222:223], v[96:99]// 000000007CE8: D3F30060 0D83BDAE
	v_mfma_f32_16x16x32_fp8_fp8 v[100:103], a[160:161], v[224:225], v[100:103]// 000000007CF0: D3F30064 0D93C1A0
	buffer_load_dwordx4 a[72:75], v38, s[24:27], 0 offen offset:2048// 000000007CF8: E05C1800 80864826
	v_mfma_f32_16x16x32_fp8_fp8 v[100:103], a[162:163], v[226:227], v[100:103]// 000000007D00: D3F30064 0D93C5A2
	v_mfma_f32_16x16x32_fp8_fp8 v[100:103], a[164:165], v[228:229], v[100:103]// 000000007D08: D3F30064 0D93C9A4
	v_mfma_f32_16x16x32_fp8_fp8 v[100:103], a[166:167], v[230:231], v[100:103]// 000000007D10: D3F30064 0D93CDA6
	v_mfma_f32_16x16x32_fp8_fp8 v[100:103], a[168:169], v[232:233], v[100:103]// 000000007D18: D3F30064 0D93D1A8
	buffer_load_dwordx4 a[76:79], v38, s[24:27], 0 offen offset:3072// 000000007D20: E05C1C00 80864C26
	v_mfma_f32_16x16x32_fp8_fp8 v[100:103], a[170:171], v[234:235], v[100:103]// 000000007D28: D3F30064 0D93D5AA
	v_mfma_f32_16x16x32_fp8_fp8 v[100:103], a[172:173], v[236:237], v[100:103]// 000000007D30: D3F30064 0D93D9AC
	v_mfma_f32_16x16x32_fp8_fp8 v[100:103], a[174:175], v[238:239], v[100:103]// 000000007D38: D3F30064 0D93DDAE
	s_waitcnt vmcnt(20)                                        // 000000007D40: BF8C4F74
	v_mfma_f32_16x16x32_fp8_fp8 v[104:107], a[176:177], v[208:209], v[104:107]// 000000007D44: D3F30068 0DA3A1B0
	buffer_load_dwordx4 a[80:83], v39, s[24:27], 0 offen       // 000000007D4C: E05C1000 80865027
	v_mfma_f32_16x16x32_fp8_fp8 v[104:107], a[178:179], v[210:211], v[104:107]// 000000007D54: D3F30068 0DA3A5B2
	v_mfma_f32_16x16x32_fp8_fp8 v[104:107], a[180:181], v[212:213], v[104:107]// 000000007D5C: D3F30068 0DA3A9B4
	v_mfma_f32_16x16x32_fp8_fp8 v[104:107], a[182:183], v[214:215], v[104:107]// 000000007D64: D3F30068 0DA3ADB6
	v_mfma_f32_16x16x32_fp8_fp8 v[104:107], a[184:185], v[216:217], v[104:107]// 000000007D6C: D3F30068 0DA3B1B8
	buffer_load_dwordx4 a[84:87], v39, s[24:27], 0 offen offset:1024// 000000007D74: E05C1400 80865427
	v_mfma_f32_16x16x32_fp8_fp8 v[104:107], a[186:187], v[218:219], v[104:107]// 000000007D7C: D3F30068 0DA3B5BA
	v_mfma_f32_16x16x32_fp8_fp8 v[104:107], a[188:189], v[220:221], v[104:107]// 000000007D84: D3F30068 0DA3B9BC
	v_mfma_f32_16x16x32_fp8_fp8 v[104:107], a[190:191], v[222:223], v[104:107]// 000000007D8C: D3F30068 0DA3BDBE
	v_mfma_f32_16x16x32_fp8_fp8 v[108:111], a[176:177], v[224:225], v[108:111]// 000000007D94: D3F3006C 0DB3C1B0
	buffer_load_dwordx4 a[88:91], v39, s[24:27], 0 offen offset:2048// 000000007D9C: E05C1800 80865827
	v_mfma_f32_16x16x32_fp8_fp8 v[108:111], a[178:179], v[226:227], v[108:111]// 000000007DA4: D3F3006C 0DB3C5B2
	v_mfma_f32_16x16x32_fp8_fp8 v[108:111], a[180:181], v[228:229], v[108:111]// 000000007DAC: D3F3006C 0DB3C9B4
	v_mfma_f32_16x16x32_fp8_fp8 v[108:111], a[182:183], v[230:231], v[108:111]// 000000007DB4: D3F3006C 0DB3CDB6
	v_mfma_f32_16x16x32_fp8_fp8 v[108:111], a[184:185], v[232:233], v[108:111]// 000000007DBC: D3F3006C 0DB3D1B8
	buffer_load_dwordx4 a[92:95], v39, s[24:27], 0 offen offset:3072// 000000007DC4: E05C1C00 80865C27
	v_mfma_f32_16x16x32_fp8_fp8 v[108:111], a[186:187], v[234:235], v[108:111]// 000000007DCC: D3F3006C 0DB3D5BA
	v_mfma_f32_16x16x32_fp8_fp8 v[108:111], a[188:189], v[236:237], v[108:111]// 000000007DD4: D3F3006C 0DB3D9BC
	v_mfma_f32_16x16x32_fp8_fp8 v[108:111], a[190:191], v[238:239], v[108:111]// 000000007DDC: D3F3006C 0DB3DDBE
	s_add_u32 s60, 0x200, s80                                  // 000000007DE4: 803C50FF 00000200
	s_cmp_lt_u32 s60, s81                                      // 000000007DEC: BF0A513C
	s_cselect_b32 s57, s57, 0                                  // 000000007DF0: 85398039
	s_add_u32 s60, 0x200, s80                                  // 000000007DF4: 803C50FF 00000200
	s_cmp_lt_u32 s60, s81                                      // 000000007DFC: BF0A513C
	s_cselect_b32 s58, s58, 0                                  // 000000007E00: 853A803A
	s_add_u32 s20, s57, s20                                    // 000000007E04: 80141439
	s_addc_u32 s21, 0, s21                                     // 000000007E08: 82151580
	s_add_u32 s24, s58, s24                                    // 000000007E0C: 8018183A
	s_addc_u32 s25, 0, s25                                     // 000000007E10: 82191980
	s_add_u32 s92, s90, s92                                    // 000000007E14: 805C5C5A
	s_addc_u32 s93, 0, s93                                     // 000000007E18: 825D5D80
	s_addk_i32 s80, 0x100                                      // 000000007E1C: B7500100
	s_cmp_lt_i32 s80, s81                                      // 000000007E20: BF045150
	s_cbranch_scc0 label_140B                                  // 000000007E24: BF840001
	s_branch label_0FB2                                        // 000000007E28: BF82FBA7

0000000000007e2c <label_140B>:
	s_mov_b32 s20, 0                                           // 000000007E2C: BE940080
	s_cmp_lt_u32 s89, s66                                      // 000000007E30: BF0A4259
	s_cselect_b32 s60, 0, 1                                    // 000000007E34: 853C8180
	s_lshl1_add_u32 s20, s20, s60                              // 000000007E38: 97143C14
	s_cmp_lt_u32 s88, s66                                      // 000000007E3C: BF0A4258
	s_cselect_b32 s60, 0, 1                                    // 000000007E40: 853C8180
	s_lshl1_add_u32 s20, s20, s60                              // 000000007E44: 97143C14
	s_cmp_lt_u32 s87, s66                                      // 000000007E48: BF0A4257
	s_cselect_b32 s60, 0, 1                                    // 000000007E4C: 853C8180
	s_lshl1_add_u32 s20, s20, s60                              // 000000007E50: 97143C14
	s_cmp_lt_u32 s86, s66                                      // 000000007E54: BF0A4256
	s_cselect_b32 s60, 0, 1                                    // 000000007E58: 853C8180
	s_lshl1_add_u32 s20, s20, s60                              // 000000007E5C: 97143C14
	s_cmp_lt_u32 s85, s66                                      // 000000007E60: BF0A4255
	s_cselect_b32 s60, 0, 1                                    // 000000007E64: 853C8180
	s_lshl1_add_u32 s20, s20, s60                              // 000000007E68: 97143C14
	s_cmp_lt_u32 s84, s66                                      // 000000007E6C: BF0A4254
	s_cselect_b32 s60, 0, 1                                    // 000000007E70: 853C8180
	s_lshl1_add_u32 s20, s20, s60                              // 000000007E74: 97143C14
	s_cmp_lt_u32 s83, s66                                      // 000000007E78: BF0A4253
	s_cselect_b32 s60, 0, 1                                    // 000000007E7C: 853C8180
	s_lshl1_add_u32 s20, s20, s60                              // 000000007E80: 97143C14
	s_cmp_lt_u32 s82, s66                                      // 000000007E84: BF0A4252
	s_cselect_b32 s60, 0, 1                                    // 000000007E88: 853C8180
	s_lshl1_add_u32 s20, s20, s60                              // 000000007E8C: 97143C14
	v_mul_f32_e32 v128, v14, v128                              // 000000007E90: 0B01010E
	v_mul_f32_e32 v129, v14, v129                              // 000000007E94: 0B03030E
	v_mul_f32_e32 v130, v14, v130                              // 000000007E98: 0B05050E
	v_mul_f32_e32 v131, v14, v131                              // 000000007E9C: 0B07070E
	v_mul_f32_dpp v128, v16, v128 row_newbcast:0 row_mask:0xf bank_mask:0xf// 000000007EA0: 0B0100FA FF015010
	v_mul_f32_dpp v129, v16, v129 row_newbcast:1 row_mask:0xf bank_mask:0xf// 000000007EA8: 0B0302FA FF015110
	v_mul_f32_dpp v130, v16, v130 row_newbcast:2 row_mask:0xf bank_mask:0xf// 000000007EB0: 0B0504FA FF015210
	v_mul_f32_dpp v131, v16, v131 row_newbcast:3 row_mask:0xf bank_mask:0xf// 000000007EB8: 0B0706FA FF015310
	v_mul_f32_e32 v132, v15, v132                              // 000000007EC0: 0B09090F
	v_mul_f32_e32 v133, v15, v133                              // 000000007EC4: 0B0B0B0F
	v_mul_f32_e32 v134, v15, v134                              // 000000007EC8: 0B0D0D0F
	v_mul_f32_e32 v135, v15, v135                              // 000000007ECC: 0B0F0F0F
	v_mul_f32_dpp v132, v16, v132 row_newbcast:0 row_mask:0xf bank_mask:0xf// 000000007ED0: 0B0908FA FF015010
	v_mul_f32_dpp v133, v16, v133 row_newbcast:1 row_mask:0xf bank_mask:0xf// 000000007ED8: 0B0B0AFA FF015110
	v_mul_f32_dpp v134, v16, v134 row_newbcast:2 row_mask:0xf bank_mask:0xf// 000000007EE0: 0B0D0CFA FF015210
	v_mul_f32_dpp v135, v16, v135 row_newbcast:3 row_mask:0xf bank_mask:0xf// 000000007EE8: 0B0F0EFA FF015310
	v_mul_f32_e32 v136, v14, v136                              // 000000007EF0: 0B11110E
	v_mul_f32_e32 v137, v14, v137                              // 000000007EF4: 0B13130E
	v_mul_f32_e32 v138, v14, v138                              // 000000007EF8: 0B15150E
	v_mul_f32_e32 v139, v14, v139                              // 000000007EFC: 0B17170E
	v_mul_f32_dpp v136, v16, v136 row_newbcast:4 row_mask:0xf bank_mask:0xf// 000000007F00: 0B1110FA FF015410
	v_mul_f32_dpp v137, v16, v137 row_newbcast:5 row_mask:0xf bank_mask:0xf// 000000007F08: 0B1312FA FF015510
	v_mul_f32_dpp v138, v16, v138 row_newbcast:6 row_mask:0xf bank_mask:0xf// 000000007F10: 0B1514FA FF015610
	v_mul_f32_dpp v139, v16, v139 row_newbcast:7 row_mask:0xf bank_mask:0xf// 000000007F18: 0B1716FA FF015710
	v_mul_f32_e32 v140, v15, v140                              // 000000007F20: 0B19190F
	v_mul_f32_e32 v141, v15, v141                              // 000000007F24: 0B1B1B0F
	v_mul_f32_e32 v142, v15, v142                              // 000000007F28: 0B1D1D0F
	v_mul_f32_e32 v143, v15, v143                              // 000000007F2C: 0B1F1F0F
	v_mul_f32_dpp v140, v16, v140 row_newbcast:4 row_mask:0xf bank_mask:0xf// 000000007F30: 0B1918FA FF015410
	v_mul_f32_dpp v141, v16, v141 row_newbcast:5 row_mask:0xf bank_mask:0xf// 000000007F38: 0B1B1AFA FF015510
	v_mul_f32_dpp v142, v16, v142 row_newbcast:6 row_mask:0xf bank_mask:0xf// 000000007F40: 0B1D1CFA FF015610
	v_mul_f32_dpp v143, v16, v143 row_newbcast:7 row_mask:0xf bank_mask:0xf// 000000007F48: 0B1F1EFA FF015710
	v_mul_f32_e32 v144, v14, v144                              // 000000007F50: 0B21210E
	v_mul_f32_e32 v145, v14, v145                              // 000000007F54: 0B23230E
	v_mul_f32_e32 v146, v14, v146                              // 000000007F58: 0B25250E
	v_mul_f32_e32 v147, v14, v147                              // 000000007F5C: 0B27270E
	v_mul_f32_dpp v144, v16, v144 row_newbcast:8 row_mask:0xf bank_mask:0xf// 000000007F60: 0B2120FA FF015810
	v_mul_f32_dpp v145, v16, v145 row_newbcast:9 row_mask:0xf bank_mask:0xf// 000000007F68: 0B2322FA FF015910
	v_mul_f32_dpp v146, v16, v146 row_newbcast:10 row_mask:0xf bank_mask:0xf// 000000007F70: 0B2524FA FF015A10
	v_mul_f32_dpp v147, v16, v147 row_newbcast:11 row_mask:0xf bank_mask:0xf// 000000007F78: 0B2726FA FF015B10
	v_mul_f32_e32 v148, v15, v148                              // 000000007F80: 0B29290F
	v_mul_f32_e32 v149, v15, v149                              // 000000007F84: 0B2B2B0F
	v_mul_f32_e32 v150, v15, v150                              // 000000007F88: 0B2D2D0F
	v_mul_f32_e32 v151, v15, v151                              // 000000007F8C: 0B2F2F0F
	v_mul_f32_dpp v148, v16, v148 row_newbcast:8 row_mask:0xf bank_mask:0xf// 000000007F90: 0B2928FA FF015810
	v_mul_f32_dpp v149, v16, v149 row_newbcast:9 row_mask:0xf bank_mask:0xf// 000000007F98: 0B2B2AFA FF015910
	v_mul_f32_dpp v150, v16, v150 row_newbcast:10 row_mask:0xf bank_mask:0xf// 000000007FA0: 0B2D2CFA FF015A10
	v_mul_f32_dpp v151, v16, v151 row_newbcast:11 row_mask:0xf bank_mask:0xf// 000000007FA8: 0B2F2EFA FF015B10
	v_mul_f32_e32 v152, v14, v152                              // 000000007FB0: 0B31310E
	v_mul_f32_e32 v153, v14, v153                              // 000000007FB4: 0B33330E
	v_mul_f32_e32 v154, v14, v154                              // 000000007FB8: 0B35350E
	v_mul_f32_e32 v155, v14, v155                              // 000000007FBC: 0B37370E
	v_mul_f32_dpp v152, v16, v152 row_newbcast:12 row_mask:0xf bank_mask:0xf// 000000007FC0: 0B3130FA FF015C10
	v_mul_f32_dpp v153, v16, v153 row_newbcast:13 row_mask:0xf bank_mask:0xf// 000000007FC8: 0B3332FA FF015D10
	v_mul_f32_dpp v154, v16, v154 row_newbcast:14 row_mask:0xf bank_mask:0xf// 000000007FD0: 0B3534FA FF015E10
	v_mul_f32_dpp v155, v16, v155 row_newbcast:15 row_mask:0xf bank_mask:0xf// 000000007FD8: 0B3736FA FF015F10
	v_mul_f32_e32 v156, v15, v156                              // 000000007FE0: 0B39390F
	v_mul_f32_e32 v157, v15, v157                              // 000000007FE4: 0B3B3B0F
	v_mul_f32_e32 v158, v15, v158                              // 000000007FE8: 0B3D3D0F
	v_mul_f32_e32 v159, v15, v159                              // 000000007FEC: 0B3F3F0F
	v_mul_f32_dpp v156, v16, v156 row_newbcast:12 row_mask:0xf bank_mask:0xf// 000000007FF0: 0B3938FA FF015C10
	v_mul_f32_dpp v157, v16, v157 row_newbcast:13 row_mask:0xf bank_mask:0xf// 000000007FF8: 0B3B3AFA FF015D10
	v_mul_f32_dpp v158, v16, v158 row_newbcast:14 row_mask:0xf bank_mask:0xf// 000000008000: 0B3D3CFA FF015E10
	v_mul_f32_dpp v159, v16, v159 row_newbcast:15 row_mask:0xf bank_mask:0xf// 000000008008: 0B3F3EFA FF015F10
	v_mul_f32_e32 v160, v14, v160                              // 000000008010: 0B41410E
	v_mul_f32_e32 v161, v14, v161                              // 000000008014: 0B43430E
	v_mul_f32_e32 v162, v14, v162                              // 000000008018: 0B45450E
	v_mul_f32_e32 v163, v14, v163                              // 00000000801C: 0B47470E
	v_mul_f32_dpp v160, v17, v160 row_newbcast:0 row_mask:0xf bank_mask:0xf// 000000008020: 0B4140FA FF015011
	v_mul_f32_dpp v161, v17, v161 row_newbcast:1 row_mask:0xf bank_mask:0xf// 000000008028: 0B4342FA FF015111
	v_mul_f32_dpp v162, v17, v162 row_newbcast:2 row_mask:0xf bank_mask:0xf// 000000008030: 0B4544FA FF015211
	v_mul_f32_dpp v163, v17, v163 row_newbcast:3 row_mask:0xf bank_mask:0xf// 000000008038: 0B4746FA FF015311
	v_mul_f32_e32 v164, v15, v164                              // 000000008040: 0B49490F
	v_mul_f32_e32 v165, v15, v165                              // 000000008044: 0B4B4B0F
	v_mul_f32_e32 v166, v15, v166                              // 000000008048: 0B4D4D0F
	v_mul_f32_e32 v167, v15, v167                              // 00000000804C: 0B4F4F0F
	v_mul_f32_dpp v164, v17, v164 row_newbcast:0 row_mask:0xf bank_mask:0xf// 000000008050: 0B4948FA FF015011
	v_mul_f32_dpp v165, v17, v165 row_newbcast:1 row_mask:0xf bank_mask:0xf// 000000008058: 0B4B4AFA FF015111
	v_mul_f32_dpp v166, v17, v166 row_newbcast:2 row_mask:0xf bank_mask:0xf// 000000008060: 0B4D4CFA FF015211
	v_mul_f32_dpp v167, v17, v167 row_newbcast:3 row_mask:0xf bank_mask:0xf// 000000008068: 0B4F4EFA FF015311
	v_mul_f32_e32 v168, v14, v168                              // 000000008070: 0B51510E
	v_mul_f32_e32 v169, v14, v169                              // 000000008074: 0B53530E
	v_mul_f32_e32 v170, v14, v170                              // 000000008078: 0B55550E
	v_mul_f32_e32 v171, v14, v171                              // 00000000807C: 0B57570E
	v_mul_f32_dpp v168, v17, v168 row_newbcast:4 row_mask:0xf bank_mask:0xf// 000000008080: 0B5150FA FF015411
	v_mul_f32_dpp v169, v17, v169 row_newbcast:5 row_mask:0xf bank_mask:0xf// 000000008088: 0B5352FA FF015511
	v_mul_f32_dpp v170, v17, v170 row_newbcast:6 row_mask:0xf bank_mask:0xf// 000000008090: 0B5554FA FF015611
	v_mul_f32_dpp v171, v17, v171 row_newbcast:7 row_mask:0xf bank_mask:0xf// 000000008098: 0B5756FA FF015711
	v_mul_f32_e32 v172, v15, v172                              // 0000000080A0: 0B59590F
	v_mul_f32_e32 v173, v15, v173                              // 0000000080A4: 0B5B5B0F
	v_mul_f32_e32 v174, v15, v174                              // 0000000080A8: 0B5D5D0F
	v_mul_f32_e32 v175, v15, v175                              // 0000000080AC: 0B5F5F0F
	v_mul_f32_dpp v172, v17, v172 row_newbcast:4 row_mask:0xf bank_mask:0xf// 0000000080B0: 0B5958FA FF015411
	v_mul_f32_dpp v173, v17, v173 row_newbcast:5 row_mask:0xf bank_mask:0xf// 0000000080B8: 0B5B5AFA FF015511
	v_mul_f32_dpp v174, v17, v174 row_newbcast:6 row_mask:0xf bank_mask:0xf// 0000000080C0: 0B5D5CFA FF015611
	v_mul_f32_dpp v175, v17, v175 row_newbcast:7 row_mask:0xf bank_mask:0xf// 0000000080C8: 0B5F5EFA FF015711
	v_mul_f32_e32 v64, v14, v64                                // 0000000080D0: 0A80810E
	v_mul_f32_e32 v65, v14, v65                                // 0000000080D4: 0A82830E
	v_mul_f32_e32 v66, v14, v66                                // 0000000080D8: 0A84850E
	v_mul_f32_e32 v67, v14, v67                                // 0000000080DC: 0A86870E
	v_mul_f32_dpp v64, v48, v64 row_newbcast:0 row_mask:0xf bank_mask:0xf// 0000000080E0: 0A8080FA FF015030
	v_mul_f32_dpp v65, v48, v65 row_newbcast:1 row_mask:0xf bank_mask:0xf// 0000000080E8: 0A8282FA FF015130
	v_mul_f32_dpp v66, v48, v66 row_newbcast:2 row_mask:0xf bank_mask:0xf// 0000000080F0: 0A8484FA FF015230
	v_mul_f32_dpp v67, v48, v67 row_newbcast:3 row_mask:0xf bank_mask:0xf// 0000000080F8: 0A8686FA FF015330
	v_mul_f32_e32 v68, v15, v68                                // 000000008100: 0A88890F
	v_mul_f32_e32 v69, v15, v69                                // 000000008104: 0A8A8B0F
	v_mul_f32_e32 v70, v15, v70                                // 000000008108: 0A8C8D0F
	v_mul_f32_e32 v71, v15, v71                                // 00000000810C: 0A8E8F0F
	v_mul_f32_dpp v68, v48, v68 row_newbcast:0 row_mask:0xf bank_mask:0xf// 000000008110: 0A8888FA FF015030
	v_mul_f32_dpp v69, v48, v69 row_newbcast:1 row_mask:0xf bank_mask:0xf// 000000008118: 0A8A8AFA FF015130
	v_mul_f32_dpp v70, v48, v70 row_newbcast:2 row_mask:0xf bank_mask:0xf// 000000008120: 0A8C8CFA FF015230
	v_mul_f32_dpp v71, v48, v71 row_newbcast:3 row_mask:0xf bank_mask:0xf// 000000008128: 0A8E8EFA FF015330
	v_mul_f32_e32 v72, v14, v72                                // 000000008130: 0A90910E
	v_mul_f32_e32 v73, v14, v73                                // 000000008134: 0A92930E
	v_mul_f32_e32 v74, v14, v74                                // 000000008138: 0A94950E
	v_mul_f32_e32 v75, v14, v75                                // 00000000813C: 0A96970E
	v_mul_f32_dpp v72, v48, v72 row_newbcast:4 row_mask:0xf bank_mask:0xf// 000000008140: 0A9090FA FF015430
	v_mul_f32_dpp v73, v48, v73 row_newbcast:5 row_mask:0xf bank_mask:0xf// 000000008148: 0A9292FA FF015530
	v_mul_f32_dpp v74, v48, v74 row_newbcast:6 row_mask:0xf bank_mask:0xf// 000000008150: 0A9494FA FF015630
	v_mul_f32_dpp v75, v48, v75 row_newbcast:7 row_mask:0xf bank_mask:0xf// 000000008158: 0A9696FA FF015730
	v_mul_f32_e32 v76, v15, v76                                // 000000008160: 0A98990F
	v_mul_f32_e32 v77, v15, v77                                // 000000008164: 0A9A9B0F
	v_mul_f32_e32 v78, v15, v78                                // 000000008168: 0A9C9D0F
	v_mul_f32_e32 v79, v15, v79                                // 00000000816C: 0A9E9F0F
	v_mul_f32_dpp v76, v48, v76 row_newbcast:4 row_mask:0xf bank_mask:0xf// 000000008170: 0A9898FA FF015430
	v_mul_f32_dpp v77, v48, v77 row_newbcast:5 row_mask:0xf bank_mask:0xf// 000000008178: 0A9A9AFA FF015530
	v_mul_f32_dpp v78, v48, v78 row_newbcast:6 row_mask:0xf bank_mask:0xf// 000000008180: 0A9C9CFA FF015630
	v_mul_f32_dpp v79, v48, v79 row_newbcast:7 row_mask:0xf bank_mask:0xf// 000000008188: 0A9E9EFA FF015730
	v_mul_f32_e32 v80, v14, v80                                // 000000008190: 0AA0A10E
	v_mul_f32_e32 v81, v14, v81                                // 000000008194: 0AA2A30E
	v_mul_f32_e32 v82, v14, v82                                // 000000008198: 0AA4A50E
	v_mul_f32_e32 v83, v14, v83                                // 00000000819C: 0AA6A70E
	v_mul_f32_dpp v80, v48, v80 row_newbcast:8 row_mask:0xf bank_mask:0xf// 0000000081A0: 0AA0A0FA FF015830
	v_mul_f32_dpp v81, v48, v81 row_newbcast:9 row_mask:0xf bank_mask:0xf// 0000000081A8: 0AA2A2FA FF015930
	v_mul_f32_dpp v82, v48, v82 row_newbcast:10 row_mask:0xf bank_mask:0xf// 0000000081B0: 0AA4A4FA FF015A30
	v_mul_f32_dpp v83, v48, v83 row_newbcast:11 row_mask:0xf bank_mask:0xf// 0000000081B8: 0AA6A6FA FF015B30
	v_mul_f32_e32 v84, v15, v84                                // 0000000081C0: 0AA8A90F
	v_mul_f32_e32 v85, v15, v85                                // 0000000081C4: 0AAAAB0F
	v_mul_f32_e32 v86, v15, v86                                // 0000000081C8: 0AACAD0F
	v_mul_f32_e32 v87, v15, v87                                // 0000000081CC: 0AAEAF0F
	v_mul_f32_dpp v84, v48, v84 row_newbcast:8 row_mask:0xf bank_mask:0xf// 0000000081D0: 0AA8A8FA FF015830
	v_mul_f32_dpp v85, v48, v85 row_newbcast:9 row_mask:0xf bank_mask:0xf// 0000000081D8: 0AAAAAFA FF015930
	v_mul_f32_dpp v86, v48, v86 row_newbcast:10 row_mask:0xf bank_mask:0xf// 0000000081E0: 0AACACFA FF015A30
	v_mul_f32_dpp v87, v48, v87 row_newbcast:11 row_mask:0xf bank_mask:0xf// 0000000081E8: 0AAEAEFA FF015B30
	v_mul_f32_e32 v88, v14, v88                                // 0000000081F0: 0AB0B10E
	v_mul_f32_e32 v89, v14, v89                                // 0000000081F4: 0AB2B30E
	v_mul_f32_e32 v90, v14, v90                                // 0000000081F8: 0AB4B50E
	v_mul_f32_e32 v91, v14, v91                                // 0000000081FC: 0AB6B70E
	v_mul_f32_dpp v88, v48, v88 row_newbcast:12 row_mask:0xf bank_mask:0xf// 000000008200: 0AB0B0FA FF015C30
	v_mul_f32_dpp v89, v48, v89 row_newbcast:13 row_mask:0xf bank_mask:0xf// 000000008208: 0AB2B2FA FF015D30
	v_mul_f32_dpp v90, v48, v90 row_newbcast:14 row_mask:0xf bank_mask:0xf// 000000008210: 0AB4B4FA FF015E30
	v_mul_f32_dpp v91, v48, v91 row_newbcast:15 row_mask:0xf bank_mask:0xf// 000000008218: 0AB6B6FA FF015F30
	v_mul_f32_e32 v92, v15, v92                                // 000000008220: 0AB8B90F
	v_mul_f32_e32 v93, v15, v93                                // 000000008224: 0ABABB0F
	v_mul_f32_e32 v94, v15, v94                                // 000000008228: 0ABCBD0F
	v_mul_f32_e32 v95, v15, v95                                // 00000000822C: 0ABEBF0F
	v_mul_f32_dpp v92, v48, v92 row_newbcast:12 row_mask:0xf bank_mask:0xf// 000000008230: 0AB8B8FA FF015C30
	v_mul_f32_dpp v93, v48, v93 row_newbcast:13 row_mask:0xf bank_mask:0xf// 000000008238: 0ABABAFA FF015D30
	v_mul_f32_dpp v94, v48, v94 row_newbcast:14 row_mask:0xf bank_mask:0xf// 000000008240: 0ABCBCFA FF015E30
	v_mul_f32_dpp v95, v48, v95 row_newbcast:15 row_mask:0xf bank_mask:0xf// 000000008248: 0ABEBEFA FF015F30
	v_mul_f32_e32 v96, v14, v96                                // 000000008250: 0AC0C10E
	v_mul_f32_e32 v97, v14, v97                                // 000000008254: 0AC2C30E
	v_mul_f32_e32 v98, v14, v98                                // 000000008258: 0AC4C50E
	v_mul_f32_e32 v99, v14, v99                                // 00000000825C: 0AC6C70E
	v_mul_f32_dpp v96, v49, v96 row_newbcast:0 row_mask:0xf bank_mask:0xf// 000000008260: 0AC0C0FA FF015031
	v_mul_f32_dpp v97, v49, v97 row_newbcast:1 row_mask:0xf bank_mask:0xf// 000000008268: 0AC2C2FA FF015131
	v_mul_f32_dpp v98, v49, v98 row_newbcast:2 row_mask:0xf bank_mask:0xf// 000000008270: 0AC4C4FA FF015231
	v_mul_f32_dpp v99, v49, v99 row_newbcast:3 row_mask:0xf bank_mask:0xf// 000000008278: 0AC6C6FA FF015331
	v_mul_f32_e32 v100, v15, v100                              // 000000008280: 0AC8C90F
	v_mul_f32_e32 v101, v15, v101                              // 000000008284: 0ACACB0F
	v_mul_f32_e32 v102, v15, v102                              // 000000008288: 0ACCCD0F
	v_mul_f32_e32 v103, v15, v103                              // 00000000828C: 0ACECF0F
	v_mul_f32_dpp v100, v49, v100 row_newbcast:0 row_mask:0xf bank_mask:0xf// 000000008290: 0AC8C8FA FF015031
	v_mul_f32_dpp v101, v49, v101 row_newbcast:1 row_mask:0xf bank_mask:0xf// 000000008298: 0ACACAFA FF015131
	v_mul_f32_dpp v102, v49, v102 row_newbcast:2 row_mask:0xf bank_mask:0xf// 0000000082A0: 0ACCCCFA FF015231
	v_mul_f32_dpp v103, v49, v103 row_newbcast:3 row_mask:0xf bank_mask:0xf// 0000000082A8: 0ACECEFA FF015331
	v_mul_f32_e32 v104, v14, v104                              // 0000000082B0: 0AD0D10E
	v_mul_f32_e32 v105, v14, v105                              // 0000000082B4: 0AD2D30E
	v_mul_f32_e32 v106, v14, v106                              // 0000000082B8: 0AD4D50E
	v_mul_f32_e32 v107, v14, v107                              // 0000000082BC: 0AD6D70E
	v_mul_f32_dpp v104, v49, v104 row_newbcast:4 row_mask:0xf bank_mask:0xf// 0000000082C0: 0AD0D0FA FF015431
	v_mul_f32_dpp v105, v49, v105 row_newbcast:5 row_mask:0xf bank_mask:0xf// 0000000082C8: 0AD2D2FA FF015531
	v_mul_f32_dpp v106, v49, v106 row_newbcast:6 row_mask:0xf bank_mask:0xf// 0000000082D0: 0AD4D4FA FF015631
	v_mul_f32_dpp v107, v49, v107 row_newbcast:7 row_mask:0xf bank_mask:0xf// 0000000082D8: 0AD6D6FA FF015731
	v_mul_f32_e32 v108, v15, v108                              // 0000000082E0: 0AD8D90F
	v_mul_f32_e32 v109, v15, v109                              // 0000000082E4: 0ADADB0F
	v_mul_f32_e32 v110, v15, v110                              // 0000000082E8: 0ADCDD0F
	v_mul_f32_e32 v111, v15, v111                              // 0000000082EC: 0ADEDF0F
	v_mul_f32_dpp v108, v49, v108 row_newbcast:4 row_mask:0xf bank_mask:0xf// 0000000082F0: 0AD8D8FA FF015431
	v_mul_f32_dpp v109, v49, v109 row_newbcast:5 row_mask:0xf bank_mask:0xf// 0000000082F8: 0ADADAFA FF015531
	v_mul_f32_dpp v110, v49, v110 row_newbcast:6 row_mask:0xf bank_mask:0xf// 000000008300: 0ADCDCFA FF015631
	v_mul_f32_dpp v111, v49, v111 row_newbcast:7 row_mask:0xf bank_mask:0xf// 000000008308: 0ADEDEFA FF015731
	s_waitcnt vmcnt(20)                                        // 000000008310: BF8C4F74
	buffer_load_dwordx4 a[0:3], v40, s[12:15], 0 offen         // 000000008314: E05C1000 80830028
	v_mul_f32_e64 v50, -v128, s6                               // 00000000831C: D1050032 20000D80
	v_mul_f32_e64 v51, -v129, s6                               // 000000008324: D1050033 20000D81
	v_mul_f32_e64 v52, -v130, s6                               // 00000000832C: D1050034 20000D82
	v_mul_f32_e64 v53, -v131, s6                               // 000000008334: D1050035 20000D83
	v_exp_f32_e32 v50, v50                                     // 00000000833C: 7E644132
	v_exp_f32_e32 v51, v51                                     // 000000008340: 7E664133
	v_exp_f32_e32 v52, v52                                     // 000000008344: 7E684134
	v_exp_f32_e32 v53, v53                                     // 000000008348: 7E6A4135
	buffer_load_dwordx4 a[4:7], v41, s[12:15], 0 offen         // 00000000834C: E05C1000 80830429
	v_add_f32_e64 v50, v50, 1.0                                // 000000008354: D1010032 0001E532
	v_add_f32_e64 v51, v51, 1.0                                // 00000000835C: D1010033 0001E533
	v_add_f32_e64 v52, v52, 1.0                                // 000000008364: D1010034 0001E534
	v_add_f32_e64 v53, v53, 1.0                                // 00000000836C: D1010035 0001E535
	v_rcp_f32_e32 v50, v50                                     // 000000008374: 7E644532
	v_rcp_f32_e32 v51, v51                                     // 000000008378: 7E664533
	v_rcp_f32_e32 v52, v52                                     // 00000000837C: 7E684534
	v_rcp_f32_e32 v53, v53                                     // 000000008380: 7E6A4535
	v_mul_f32_e32 v128, v128, v50                              // 000000008384: 0B006580
	v_mul_f32_e32 v129, v129, v51                              // 000000008388: 0B026781
	v_mul_f32_e32 v130, v130, v52                              // 00000000838C: 0B046982
	v_mul_f32_e32 v131, v131, v53                              // 000000008390: 0B066B83
	v_mul_f32_e32 v128, v128, v64                              // 000000008394: 0B008180
	v_mul_f32_e32 v129, v129, v65                              // 000000008398: 0B028381
	v_mul_f32_e32 v130, v130, v66                              // 00000000839C: 0B048582
	v_mul_f32_e32 v131, v131, v67                              // 0000000083A0: 0B068783
	buffer_load_dwordx4 a[8:11], v42, s[12:15], 0 offen        // 0000000083A4: E05C1000 8083082A
	v_mul_f32_e64 v50, -v132, s6                               // 0000000083AC: D1050032 20000D84
	v_mul_f32_e64 v51, -v133, s6                               // 0000000083B4: D1050033 20000D85
	v_mul_f32_e64 v52, -v134, s6                               // 0000000083BC: D1050034 20000D86
	v_mul_f32_e64 v53, -v135, s6                               // 0000000083C4: D1050035 20000D87
	v_exp_f32_e32 v50, v50                                     // 0000000083CC: 7E644132
	v_exp_f32_e32 v51, v51                                     // 0000000083D0: 7E664133
	v_exp_f32_e32 v52, v52                                     // 0000000083D4: 7E684134
	v_exp_f32_e32 v53, v53                                     // 0000000083D8: 7E6A4135
	buffer_load_dwordx4 a[12:15], v43, s[12:15], 0 offen       // 0000000083DC: E05C1000 80830C2B
	s_add_u32 s12, s78, s12                                    // 0000000083E4: 800C0C4E
	s_addc_u32 s13, 0, s13                                     // 0000000083E8: 820D0D80
	v_add_f32_e64 v50, v50, 1.0                                // 0000000083EC: D1010032 0001E532
	v_add_f32_e64 v51, v51, 1.0                                // 0000000083F4: D1010033 0001E533
	v_add_f32_e64 v52, v52, 1.0                                // 0000000083FC: D1010034 0001E534
	v_add_f32_e64 v53, v53, 1.0                                // 000000008404: D1010035 0001E535
	v_rcp_f32_e32 v50, v50                                     // 00000000840C: 7E644532
	v_rcp_f32_e32 v51, v51                                     // 000000008410: 7E664533
	v_rcp_f32_e32 v52, v52                                     // 000000008414: 7E684534
	v_rcp_f32_e32 v53, v53                                     // 000000008418: 7E6A4535
	v_mul_f32_e32 v132, v132, v50                              // 00000000841C: 0B086584
	v_mul_f32_e32 v133, v133, v51                              // 000000008420: 0B0A6785
	v_mul_f32_e32 v134, v134, v52                              // 000000008424: 0B0C6986
	v_mul_f32_e32 v135, v135, v53                              // 000000008428: 0B0E6B87
	v_mul_f32_e32 v132, v132, v68                              // 00000000842C: 0B088984
	v_mul_f32_e32 v133, v133, v69                              // 000000008430: 0B0A8B85
	v_mul_f32_e32 v134, v134, v70                              // 000000008434: 0B0C8D86
	v_mul_f32_e32 v135, v135, v71                              // 000000008438: 0B0E8F87
	s_waitcnt vmcnt(20)                                        // 00000000843C: BF8C4F74
	buffer_load_dwordx4 a[16:19], v40, s[12:15], 0 offen       // 000000008440: E05C1000 80831028
	v_mul_f32_e64 v50, -v136, s6                               // 000000008448: D1050032 20000D88
	v_mul_f32_e64 v51, -v137, s6                               // 000000008450: D1050033 20000D89
	v_mul_f32_e64 v52, -v138, s6                               // 000000008458: D1050034 20000D8A
	v_mul_f32_e64 v53, -v139, s6                               // 000000008460: D1050035 20000D8B
	v_exp_f32_e32 v50, v50                                     // 000000008468: 7E644132
	v_exp_f32_e32 v51, v51                                     // 00000000846C: 7E664133
	v_exp_f32_e32 v52, v52                                     // 000000008470: 7E684134
	v_exp_f32_e32 v53, v53                                     // 000000008474: 7E6A4135
	buffer_load_dwordx4 a[20:23], v41, s[12:15], 0 offen       // 000000008478: E05C1000 80831429
	v_add_f32_e64 v50, v50, 1.0                                // 000000008480: D1010032 0001E532
	v_add_f32_e64 v51, v51, 1.0                                // 000000008488: D1010033 0001E533
	v_add_f32_e64 v52, v52, 1.0                                // 000000008490: D1010034 0001E534
	v_add_f32_e64 v53, v53, 1.0                                // 000000008498: D1010035 0001E535
	v_rcp_f32_e32 v50, v50                                     // 0000000084A0: 7E644532
	v_rcp_f32_e32 v51, v51                                     // 0000000084A4: 7E664533
	v_rcp_f32_e32 v52, v52                                     // 0000000084A8: 7E684534
	v_rcp_f32_e32 v53, v53                                     // 0000000084AC: 7E6A4535
	v_mul_f32_e32 v136, v136, v50                              // 0000000084B0: 0B106588
	v_mul_f32_e32 v137, v137, v51                              // 0000000084B4: 0B126789
	v_mul_f32_e32 v138, v138, v52                              // 0000000084B8: 0B14698A
	v_mul_f32_e32 v139, v139, v53                              // 0000000084BC: 0B166B8B
	v_mul_f32_e32 v136, v136, v72                              // 0000000084C0: 0B109188
	v_mul_f32_e32 v137, v137, v73                              // 0000000084C4: 0B129389
	v_mul_f32_e32 v138, v138, v74                              // 0000000084C8: 0B14958A
	v_mul_f32_e32 v139, v139, v75                              // 0000000084CC: 0B16978B
	buffer_load_dwordx4 a[24:27], v42, s[12:15], 0 offen       // 0000000084D0: E05C1000 8083182A
	v_mul_f32_e64 v50, -v140, s6                               // 0000000084D8: D1050032 20000D8C
	v_mul_f32_e64 v51, -v141, s6                               // 0000000084E0: D1050033 20000D8D
	v_mul_f32_e64 v52, -v142, s6                               // 0000000084E8: D1050034 20000D8E
	v_mul_f32_e64 v53, -v143, s6                               // 0000000084F0: D1050035 20000D8F
	v_exp_f32_e32 v50, v50                                     // 0000000084F8: 7E644132
	v_exp_f32_e32 v51, v51                                     // 0000000084FC: 7E664133
	v_exp_f32_e32 v52, v52                                     // 000000008500: 7E684134
	v_exp_f32_e32 v53, v53                                     // 000000008504: 7E6A4135
	buffer_load_dwordx4 a[28:31], v43, s[12:15], 0 offen       // 000000008508: E05C1000 80831C2B
	s_add_u32 s12, s78, s12                                    // 000000008510: 800C0C4E
	s_addc_u32 s13, 0, s13                                     // 000000008514: 820D0D80
	v_add_f32_e64 v50, v50, 1.0                                // 000000008518: D1010032 0001E532
	v_add_f32_e64 v51, v51, 1.0                                // 000000008520: D1010033 0001E533
	v_add_f32_e64 v52, v52, 1.0                                // 000000008528: D1010034 0001E534
	v_add_f32_e64 v53, v53, 1.0                                // 000000008530: D1010035 0001E535
	v_rcp_f32_e32 v50, v50                                     // 000000008538: 7E644532
	v_rcp_f32_e32 v51, v51                                     // 00000000853C: 7E664533
	v_rcp_f32_e32 v52, v52                                     // 000000008540: 7E684534
	v_rcp_f32_e32 v53, v53                                     // 000000008544: 7E6A4535
	v_mul_f32_e32 v140, v140, v50                              // 000000008548: 0B18658C
	v_mul_f32_e32 v141, v141, v51                              // 00000000854C: 0B1A678D
	v_mul_f32_e32 v142, v142, v52                              // 000000008550: 0B1C698E
	v_mul_f32_e32 v143, v143, v53                              // 000000008554: 0B1E6B8F
	v_mul_f32_e32 v140, v140, v76                              // 000000008558: 0B18998C
	v_mul_f32_e32 v141, v141, v77                              // 00000000855C: 0B1A9B8D
	v_mul_f32_e32 v142, v142, v78                              // 000000008560: 0B1C9D8E
	v_mul_f32_e32 v143, v143, v79                              // 000000008564: 0B1E9F8F
	s_waitcnt vmcnt(20)                                        // 000000008568: BF8C4F74
	buffer_load_dwordx4 a[32:35], v40, s[12:15], 0 offen       // 00000000856C: E05C1000 80832028
	v_mul_f32_e64 v50, -v144, s6                               // 000000008574: D1050032 20000D90
	v_mul_f32_e64 v51, -v145, s6                               // 00000000857C: D1050033 20000D91
	v_mul_f32_e64 v52, -v146, s6                               // 000000008584: D1050034 20000D92
	v_mul_f32_e64 v53, -v147, s6                               // 00000000858C: D1050035 20000D93
	v_exp_f32_e32 v50, v50                                     // 000000008594: 7E644132
	v_exp_f32_e32 v51, v51                                     // 000000008598: 7E664133
	v_exp_f32_e32 v52, v52                                     // 00000000859C: 7E684134
	v_exp_f32_e32 v53, v53                                     // 0000000085A0: 7E6A4135
	buffer_load_dwordx4 a[36:39], v41, s[12:15], 0 offen       // 0000000085A4: E05C1000 80832429
	v_add_f32_e64 v50, v50, 1.0                                // 0000000085AC: D1010032 0001E532
	v_add_f32_e64 v51, v51, 1.0                                // 0000000085B4: D1010033 0001E533
	v_add_f32_e64 v52, v52, 1.0                                // 0000000085BC: D1010034 0001E534
	v_add_f32_e64 v53, v53, 1.0                                // 0000000085C4: D1010035 0001E535
	v_rcp_f32_e32 v50, v50                                     // 0000000085CC: 7E644532
	v_rcp_f32_e32 v51, v51                                     // 0000000085D0: 7E664533
	v_rcp_f32_e32 v52, v52                                     // 0000000085D4: 7E684534
	v_rcp_f32_e32 v53, v53                                     // 0000000085D8: 7E6A4535
	v_mul_f32_e32 v144, v144, v50                              // 0000000085DC: 0B206590
	v_mul_f32_e32 v145, v145, v51                              // 0000000085E0: 0B226791
	v_mul_f32_e32 v146, v146, v52                              // 0000000085E4: 0B246992
	v_mul_f32_e32 v147, v147, v53                              // 0000000085E8: 0B266B93
	v_mul_f32_e32 v144, v144, v80                              // 0000000085EC: 0B20A190
	v_mul_f32_e32 v145, v145, v81                              // 0000000085F0: 0B22A391
	v_mul_f32_e32 v146, v146, v82                              // 0000000085F4: 0B24A592
	v_mul_f32_e32 v147, v147, v83                              // 0000000085F8: 0B26A793
	buffer_load_dwordx4 a[40:43], v42, s[12:15], 0 offen       // 0000000085FC: E05C1000 8083282A
	v_mul_f32_e64 v50, -v148, s6                               // 000000008604: D1050032 20000D94
	v_mul_f32_e64 v51, -v149, s6                               // 00000000860C: D1050033 20000D95
	v_mul_f32_e64 v52, -v150, s6                               // 000000008614: D1050034 20000D96
	v_mul_f32_e64 v53, -v151, s6                               // 00000000861C: D1050035 20000D97
	v_exp_f32_e32 v50, v50                                     // 000000008624: 7E644132
	v_exp_f32_e32 v51, v51                                     // 000000008628: 7E664133
	v_exp_f32_e32 v52, v52                                     // 00000000862C: 7E684134
	v_exp_f32_e32 v53, v53                                     // 000000008630: 7E6A4135
	buffer_load_dwordx4 a[44:47], v43, s[12:15], 0 offen       // 000000008634: E05C1000 80832C2B
	s_add_u32 s12, s78, s12                                    // 00000000863C: 800C0C4E
	s_addc_u32 s13, 0, s13                                     // 000000008640: 820D0D80
	v_add_f32_e64 v50, v50, 1.0                                // 000000008644: D1010032 0001E532
	v_add_f32_e64 v51, v51, 1.0                                // 00000000864C: D1010033 0001E533
	v_add_f32_e64 v52, v52, 1.0                                // 000000008654: D1010034 0001E534
	v_add_f32_e64 v53, v53, 1.0                                // 00000000865C: D1010035 0001E535
	v_rcp_f32_e32 v50, v50                                     // 000000008664: 7E644532
	v_rcp_f32_e32 v51, v51                                     // 000000008668: 7E664533
	v_rcp_f32_e32 v52, v52                                     // 00000000866C: 7E684534
	v_rcp_f32_e32 v53, v53                                     // 000000008670: 7E6A4535
	v_mul_f32_e32 v148, v148, v50                              // 000000008674: 0B286594
	v_mul_f32_e32 v149, v149, v51                              // 000000008678: 0B2A6795
	v_mul_f32_e32 v150, v150, v52                              // 00000000867C: 0B2C6996
	v_mul_f32_e32 v151, v151, v53                              // 000000008680: 0B2E6B97
	v_mul_f32_e32 v148, v148, v84                              // 000000008684: 0B28A994
	v_mul_f32_e32 v149, v149, v85                              // 000000008688: 0B2AAB95
	v_mul_f32_e32 v150, v150, v86                              // 00000000868C: 0B2CAD96
	v_mul_f32_e32 v151, v151, v87                              // 000000008690: 0B2EAF97
	s_waitcnt vmcnt(20)                                        // 000000008694: BF8C4F74
	buffer_load_dwordx4 a[48:51], v40, s[12:15], 0 offen       // 000000008698: E05C1000 80833028
	v_mul_f32_e64 v50, -v152, s6                               // 0000000086A0: D1050032 20000D98
	v_mul_f32_e64 v51, -v153, s6                               // 0000000086A8: D1050033 20000D99
	v_mul_f32_e64 v52, -v154, s6                               // 0000000086B0: D1050034 20000D9A
	v_mul_f32_e64 v53, -v155, s6                               // 0000000086B8: D1050035 20000D9B
	v_exp_f32_e32 v50, v50                                     // 0000000086C0: 7E644132
	v_exp_f32_e32 v51, v51                                     // 0000000086C4: 7E664133
	v_exp_f32_e32 v52, v52                                     // 0000000086C8: 7E684134
	v_exp_f32_e32 v53, v53                                     // 0000000086CC: 7E6A4135
	buffer_load_dwordx4 a[52:55], v41, s[12:15], 0 offen       // 0000000086D0: E05C1000 80833429
	v_add_f32_e64 v50, v50, 1.0                                // 0000000086D8: D1010032 0001E532
	v_add_f32_e64 v51, v51, 1.0                                // 0000000086E0: D1010033 0001E533
	v_add_f32_e64 v52, v52, 1.0                                // 0000000086E8: D1010034 0001E534
	v_add_f32_e64 v53, v53, 1.0                                // 0000000086F0: D1010035 0001E535
	v_rcp_f32_e32 v50, v50                                     // 0000000086F8: 7E644532
	v_rcp_f32_e32 v51, v51                                     // 0000000086FC: 7E664533
	v_rcp_f32_e32 v52, v52                                     // 000000008700: 7E684534
	v_rcp_f32_e32 v53, v53                                     // 000000008704: 7E6A4535
	v_mul_f32_e32 v152, v152, v50                              // 000000008708: 0B306598
	v_mul_f32_e32 v153, v153, v51                              // 00000000870C: 0B326799
	v_mul_f32_e32 v154, v154, v52                              // 000000008710: 0B34699A
	v_mul_f32_e32 v155, v155, v53                              // 000000008714: 0B366B9B
	v_mul_f32_e32 v152, v152, v88                              // 000000008718: 0B30B198
	v_mul_f32_e32 v153, v153, v89                              // 00000000871C: 0B32B399
	v_mul_f32_e32 v154, v154, v90                              // 000000008720: 0B34B59A
	v_mul_f32_e32 v155, v155, v91                              // 000000008724: 0B36B79B
	buffer_load_dwordx4 a[56:59], v42, s[12:15], 0 offen       // 000000008728: E05C1000 8083382A
	v_mul_f32_e64 v50, -v156, s6                               // 000000008730: D1050032 20000D9C
	v_mul_f32_e64 v51, -v157, s6                               // 000000008738: D1050033 20000D9D
	v_mul_f32_e64 v52, -v158, s6                               // 000000008740: D1050034 20000D9E
	v_mul_f32_e64 v53, -v159, s6                               // 000000008748: D1050035 20000D9F
	v_exp_f32_e32 v50, v50                                     // 000000008750: 7E644132
	v_exp_f32_e32 v51, v51                                     // 000000008754: 7E664133
	v_exp_f32_e32 v52, v52                                     // 000000008758: 7E684134
	v_exp_f32_e32 v53, v53                                     // 00000000875C: 7E6A4135
	buffer_load_dwordx4 a[60:63], v43, s[12:15], 0 offen       // 000000008760: E05C1000 80833C2B
	s_add_u32 s12, s78, s12                                    // 000000008768: 800C0C4E
	s_addc_u32 s13, 0, s13                                     // 00000000876C: 820D0D80
	v_add_f32_e64 v50, v50, 1.0                                // 000000008770: D1010032 0001E532
	v_add_f32_e64 v51, v51, 1.0                                // 000000008778: D1010033 0001E533
	v_add_f32_e64 v52, v52, 1.0                                // 000000008780: D1010034 0001E534
	v_add_f32_e64 v53, v53, 1.0                                // 000000008788: D1010035 0001E535
	v_rcp_f32_e32 v50, v50                                     // 000000008790: 7E644532
	v_rcp_f32_e32 v51, v51                                     // 000000008794: 7E664533
	v_rcp_f32_e32 v52, v52                                     // 000000008798: 7E684534
	v_rcp_f32_e32 v53, v53                                     // 00000000879C: 7E6A4535
	v_mul_f32_e32 v156, v156, v50                              // 0000000087A0: 0B38659C
	v_mul_f32_e32 v157, v157, v51                              // 0000000087A4: 0B3A679D
	v_mul_f32_e32 v158, v158, v52                              // 0000000087A8: 0B3C699E
	v_mul_f32_e32 v159, v159, v53                              // 0000000087AC: 0B3E6B9F
	v_mul_f32_e32 v156, v156, v92                              // 0000000087B0: 0B38B99C
	v_mul_f32_e32 v157, v157, v93                              // 0000000087B4: 0B3ABB9D
	v_mul_f32_e32 v158, v158, v94                              // 0000000087B8: 0B3CBD9E
	v_mul_f32_e32 v159, v159, v95                              // 0000000087BC: 0B3EBF9F
	s_waitcnt vmcnt(20)                                        // 0000000087C0: BF8C4F74
	buffer_load_dwordx4 a[64:67], v40, s[12:15], 0 offen       // 0000000087C4: E05C1000 80834028
	v_mul_f32_e64 v50, -v160, s6                               // 0000000087CC: D1050032 20000DA0
	v_mul_f32_e64 v51, -v161, s6                               // 0000000087D4: D1050033 20000DA1
	v_mul_f32_e64 v52, -v162, s6                               // 0000000087DC: D1050034 20000DA2
	v_mul_f32_e64 v53, -v163, s6                               // 0000000087E4: D1050035 20000DA3
	v_exp_f32_e32 v50, v50                                     // 0000000087EC: 7E644132
	v_exp_f32_e32 v51, v51                                     // 0000000087F0: 7E664133
	v_exp_f32_e32 v52, v52                                     // 0000000087F4: 7E684134
	v_exp_f32_e32 v53, v53                                     // 0000000087F8: 7E6A4135
	buffer_load_dwordx4 a[68:71], v41, s[12:15], 0 offen       // 0000000087FC: E05C1000 80834429
	v_add_f32_e64 v50, v50, 1.0                                // 000000008804: D1010032 0001E532
	v_add_f32_e64 v51, v51, 1.0                                // 00000000880C: D1010033 0001E533
	v_add_f32_e64 v52, v52, 1.0                                // 000000008814: D1010034 0001E534
	v_add_f32_e64 v53, v53, 1.0                                // 00000000881C: D1010035 0001E535
	v_rcp_f32_e32 v50, v50                                     // 000000008824: 7E644532
	v_rcp_f32_e32 v51, v51                                     // 000000008828: 7E664533
	v_rcp_f32_e32 v52, v52                                     // 00000000882C: 7E684534
	v_rcp_f32_e32 v53, v53                                     // 000000008830: 7E6A4535
	v_mul_f32_e32 v160, v160, v50                              // 000000008834: 0B4065A0
	v_mul_f32_e32 v161, v161, v51                              // 000000008838: 0B4267A1
	v_mul_f32_e32 v162, v162, v52                              // 00000000883C: 0B4469A2
	v_mul_f32_e32 v163, v163, v53                              // 000000008840: 0B466BA3
	v_mul_f32_e32 v160, v160, v96                              // 000000008844: 0B40C1A0
	v_mul_f32_e32 v161, v161, v97                              // 000000008848: 0B42C3A1
	v_mul_f32_e32 v162, v162, v98                              // 00000000884C: 0B44C5A2
	v_mul_f32_e32 v163, v163, v99                              // 000000008850: 0B46C7A3
	buffer_load_dwordx4 a[72:75], v42, s[12:15], 0 offen       // 000000008854: E05C1000 8083482A
	v_mul_f32_e64 v50, -v164, s6                               // 00000000885C: D1050032 20000DA4
	v_mul_f32_e64 v51, -v165, s6                               // 000000008864: D1050033 20000DA5
	v_mul_f32_e64 v52, -v166, s6                               // 00000000886C: D1050034 20000DA6
	v_mul_f32_e64 v53, -v167, s6                               // 000000008874: D1050035 20000DA7
	v_exp_f32_e32 v50, v50                                     // 00000000887C: 7E644132
	v_exp_f32_e32 v51, v51                                     // 000000008880: 7E664133
	v_exp_f32_e32 v52, v52                                     // 000000008884: 7E684134
	v_exp_f32_e32 v53, v53                                     // 000000008888: 7E6A4135
	buffer_load_dwordx4 a[76:79], v43, s[12:15], 0 offen       // 00000000888C: E05C1000 80834C2B
	s_add_u32 s12, s78, s12                                    // 000000008894: 800C0C4E
	s_addc_u32 s13, 0, s13                                     // 000000008898: 820D0D80
	v_add_f32_e64 v50, v50, 1.0                                // 00000000889C: D1010032 0001E532
	v_add_f32_e64 v51, v51, 1.0                                // 0000000088A4: D1010033 0001E533
	v_add_f32_e64 v52, v52, 1.0                                // 0000000088AC: D1010034 0001E534
	v_add_f32_e64 v53, v53, 1.0                                // 0000000088B4: D1010035 0001E535
	v_rcp_f32_e32 v50, v50                                     // 0000000088BC: 7E644532
	v_rcp_f32_e32 v51, v51                                     // 0000000088C0: 7E664533
	v_rcp_f32_e32 v52, v52                                     // 0000000088C4: 7E684534
	v_rcp_f32_e32 v53, v53                                     // 0000000088C8: 7E6A4535
	v_mul_f32_e32 v164, v164, v50                              // 0000000088CC: 0B4865A4
	v_mul_f32_e32 v165, v165, v51                              // 0000000088D0: 0B4A67A5
	v_mul_f32_e32 v166, v166, v52                              // 0000000088D4: 0B4C69A6
	v_mul_f32_e32 v167, v167, v53                              // 0000000088D8: 0B4E6BA7
	v_mul_f32_e32 v164, v164, v100                             // 0000000088DC: 0B48C9A4
	v_mul_f32_e32 v165, v165, v101                             // 0000000088E0: 0B4ACBA5
	v_mul_f32_e32 v166, v166, v102                             // 0000000088E4: 0B4CCDA6
	v_mul_f32_e32 v167, v167, v103                             // 0000000088E8: 0B4ECFA7
	s_waitcnt vmcnt(20)                                        // 0000000088EC: BF8C4F74
	buffer_load_dwordx4 a[80:83], v40, s[12:15], 0 offen       // 0000000088F0: E05C1000 80835028
	v_mul_f32_e64 v50, -v168, s6                               // 0000000088F8: D1050032 20000DA8
	v_mul_f32_e64 v51, -v169, s6                               // 000000008900: D1050033 20000DA9
	v_mul_f32_e64 v52, -v170, s6                               // 000000008908: D1050034 20000DAA
	v_mul_f32_e64 v53, -v171, s6                               // 000000008910: D1050035 20000DAB
	v_exp_f32_e32 v50, v50                                     // 000000008918: 7E644132
	v_exp_f32_e32 v51, v51                                     // 00000000891C: 7E664133
	v_exp_f32_e32 v52, v52                                     // 000000008920: 7E684134
	v_exp_f32_e32 v53, v53                                     // 000000008924: 7E6A4135
	buffer_load_dwordx4 a[84:87], v41, s[12:15], 0 offen       // 000000008928: E05C1000 80835429
	v_add_f32_e64 v50, v50, 1.0                                // 000000008930: D1010032 0001E532
	v_add_f32_e64 v51, v51, 1.0                                // 000000008938: D1010033 0001E533
	v_add_f32_e64 v52, v52, 1.0                                // 000000008940: D1010034 0001E534
	v_add_f32_e64 v53, v53, 1.0                                // 000000008948: D1010035 0001E535
	v_rcp_f32_e32 v50, v50                                     // 000000008950: 7E644532
	v_rcp_f32_e32 v51, v51                                     // 000000008954: 7E664533
	v_rcp_f32_e32 v52, v52                                     // 000000008958: 7E684534
	v_rcp_f32_e32 v53, v53                                     // 00000000895C: 7E6A4535
	v_mul_f32_e32 v168, v168, v50                              // 000000008960: 0B5065A8
	v_mul_f32_e32 v169, v169, v51                              // 000000008964: 0B5267A9
	v_mul_f32_e32 v170, v170, v52                              // 000000008968: 0B5469AA
	v_mul_f32_e32 v171, v171, v53                              // 00000000896C: 0B566BAB
	v_mul_f32_e32 v168, v168, v104                             // 000000008970: 0B50D1A8
	v_mul_f32_e32 v169, v169, v105                             // 000000008974: 0B52D3A9
	v_mul_f32_e32 v170, v170, v106                             // 000000008978: 0B54D5AA
	v_mul_f32_e32 v171, v171, v107                             // 00000000897C: 0B56D7AB
	buffer_load_dwordx4 a[88:91], v42, s[12:15], 0 offen       // 000000008980: E05C1000 8083582A
	v_mul_f32_e64 v50, -v172, s6                               // 000000008988: D1050032 20000DAC
	v_mul_f32_e64 v51, -v173, s6                               // 000000008990: D1050033 20000DAD
	v_mul_f32_e64 v52, -v174, s6                               // 000000008998: D1050034 20000DAE
	v_mul_f32_e64 v53, -v175, s6                               // 0000000089A0: D1050035 20000DAF
	v_exp_f32_e32 v50, v50                                     // 0000000089A8: 7E644132
	v_exp_f32_e32 v51, v51                                     // 0000000089AC: 7E664133
	v_exp_f32_e32 v52, v52                                     // 0000000089B0: 7E684134
	v_exp_f32_e32 v53, v53                                     // 0000000089B4: 7E6A4135
	buffer_load_dwordx4 a[92:95], v43, s[12:15], 0 offen       // 0000000089B8: E05C1000 80835C2B
	v_add_f32_e64 v50, v50, 1.0                                // 0000000089C0: D1010032 0001E532
	v_add_f32_e64 v51, v51, 1.0                                // 0000000089C8: D1010033 0001E533
	v_add_f32_e64 v52, v52, 1.0                                // 0000000089D0: D1010034 0001E534
	v_add_f32_e64 v53, v53, 1.0                                // 0000000089D8: D1010035 0001E535
	v_rcp_f32_e32 v50, v50                                     // 0000000089E0: 7E644532
	v_rcp_f32_e32 v51, v51                                     // 0000000089E4: 7E664533
	v_rcp_f32_e32 v52, v52                                     // 0000000089E8: 7E684534
	v_rcp_f32_e32 v53, v53                                     // 0000000089EC: 7E6A4535
	v_mul_f32_e32 v172, v172, v50                              // 0000000089F0: 0B5865AC
	v_mul_f32_e32 v173, v173, v51                              // 0000000089F4: 0B5A67AD
	v_mul_f32_e32 v174, v174, v52                              // 0000000089F8: 0B5C69AE
	v_mul_f32_e32 v175, v175, v53                              // 0000000089FC: 0B5E6BAF
	v_mul_f32_e32 v172, v172, v108                             // 000000008A00: 0B58D9AC
	v_mul_f32_e32 v173, v173, v109                             // 000000008A04: 0B5ADBAD
	v_mul_f32_e32 v174, v174, v110                             // 000000008A08: 0B5CDDAE
	v_mul_f32_e32 v175, v175, v111                             // 000000008A0C: 0B5EDFAF
	v_lshlrev_b32_e32 v50, 2, v0                               // 000000008A10: 24640082
	s_mul_i32 s60, s82, s71                                    // 000000008A14: 923C4752
	v_add_u32_e64 v80, v50, s60                                // 000000008A18: D1340050 00007932
	v_mov_b32_e32 v81, 0                                       // 000000008A20: 7EA20280
	s_mul_i32 s60, s83, s71                                    // 000000008A24: 923C4753
	v_add_u32_e64 v82, v50, s60                                // 000000008A28: D1340052 00007932
	v_mov_b32_e32 v83, 0                                       // 000000008A30: 7EA60280
	s_mul_i32 s60, s84, s71                                    // 000000008A34: 923C4754
	v_add_u32_e64 v84, v50, s60                                // 000000008A38: D1340054 00007932
	v_mov_b32_e32 v85, 0                                       // 000000008A40: 7EAA0280
	s_mul_i32 s60, s85, s71                                    // 000000008A44: 923C4755
	v_add_u32_e64 v86, v50, s60                                // 000000008A48: D1340056 00007932
	v_mov_b32_e32 v87, 0                                       // 000000008A50: 7EAE0280
	s_mul_i32 s60, s86, s71                                    // 000000008A54: 923C4756
	v_add_u32_e64 v88, v50, s60                                // 000000008A58: D1340058 00007932
	v_mov_b32_e32 v89, 0                                       // 000000008A60: 7EB20280
	s_mul_i32 s60, s87, s71                                    // 000000008A64: 923C4757
	v_add_u32_e64 v90, v50, s60                                // 000000008A68: D134005A 00007932
	v_mov_b32_e32 v91, 0                                       // 000000008A70: 7EB60280
	s_mul_i32 s60, s88, s71                                    // 000000008A74: 923C4758
	v_add_u32_e64 v92, v50, s60                                // 000000008A78: D134005C 00007932
	v_mov_b32_e32 v93, 0                                       // 000000008A80: 7EBA0280
	s_mul_i32 s60, s89, s71                                    // 000000008A84: 923C4759
	v_add_u32_e64 v94, v50, s60                                // 000000008A88: D134005E 00007932
	v_mov_b32_e32 v95, 0                                       // 000000008A90: 7EBE0280
	buffer_load_dword v12, v5, s[16:19], 0 offen               // 000000008A94: E0501000 80040C05
	v_mov_b32_e32 v22, 0x358637bd                              // 000000008A9C: 7E2C02FF 358637BD
	v_mov_b32_e32 v23, 0x358637bd                              // 000000008AA4: 7E2E02FF 358637BD
	v_max3_f32 v22, |v128|, |v129|, v22                        // 000000008AAC: D1D30316 045B0380
	v_max3_f32 v22, |v130|, |v131|, v22                        // 000000008AB4: D1D30316 045B0782
	v_max3_f32 v23, |v132|, |v133|, v23                        // 000000008ABC: D1D30317 045F0B84
	v_max3_f32 v23, |v134|, |v135|, v23                        // 000000008AC4: D1D30317 045F0F86
	v_max3_f32 v22, |v136|, |v137|, v22                        // 000000008ACC: D1D30316 045B1388
	v_max3_f32 v22, |v138|, |v139|, v22                        // 000000008AD4: D1D30316 045B178A
	v_max3_f32 v23, |v140|, |v141|, v23                        // 000000008ADC: D1D30317 045F1B8C
	v_max3_f32 v23, |v142|, |v143|, v23                        // 000000008AE4: D1D30317 045F1F8E
	v_max3_f32 v22, |v144|, |v145|, v22                        // 000000008AEC: D1D30316 045B2390
	v_max3_f32 v22, |v146|, |v147|, v22                        // 000000008AF4: D1D30316 045B2792
	v_max3_f32 v23, |v148|, |v149|, v23                        // 000000008AFC: D1D30317 045F2B94
	v_max3_f32 v23, |v150|, |v151|, v23                        // 000000008B04: D1D30317 045F2F96
	v_max3_f32 v22, |v152|, |v153|, v22                        // 000000008B0C: D1D30316 045B3398
	v_max3_f32 v22, |v154|, |v155|, v22                        // 000000008B14: D1D30316 045B379A
	v_max3_f32 v23, |v156|, |v157|, v23                        // 000000008B1C: D1D30317 045F3B9C
	v_max3_f32 v23, |v158|, |v159|, v23                        // 000000008B24: D1D30317 045F3F9E
	v_max3_f32 v22, |v160|, |v161|, v22                        // 000000008B2C: D1D30316 045B43A0
	v_max3_f32 v22, |v162|, |v163|, v22                        // 000000008B34: D1D30316 045B47A2
	v_max3_f32 v23, |v164|, |v165|, v23                        // 000000008B3C: D1D30317 045F4BA4
	v_max3_f32 v23, |v166|, |v167|, v23                        // 000000008B44: D1D30317 045F4FA6
	v_max3_f32 v22, |v168|, |v169|, v22                        // 000000008B4C: D1D30316 045B53A8
	v_max3_f32 v22, |v170|, |v171|, v22                        // 000000008B54: D1D30316 045B57AA
	v_max3_f32 v23, |v172|, |v173|, v23                        // 000000008B5C: D1D30317 045F5BAC
	v_max3_f32 v23, |v174|, |v175|, v23                        // 000000008B64: D1D30317 045F5FAE
	v_lshlrev_b32_e32 v50, 3, v0                               // 000000008B6C: 24640083
	s_mul_i32 s60, 0x200, s7                                   // 000000008B70: 923C07FF 00000200
	v_add_u32_e32 v50, s60, v50                                // 000000008B78: 6864643C
	ds_write_b64 v50, v[22:23] offset:16640                    // 000000008B7C: D89A4100 00001632
	s_waitcnt lgkmcnt(0)                                       // 000000008B84: BF8CC07F
	s_barrier                                                  // 000000008B88: BF8A0000
	v_and_b32_e32 v50, 15, v0                                  // 000000008B8C: 2664008F
	v_lshlrev_b32_e32 v50, 3, v50                              // 000000008B90: 24646483
	ds_read_b64 v[96:97], v50 offset:16640                     // 000000008B94: D8EC4100 60000032
	ds_read_b64 v[98:99], v50 offset:16768                     // 000000008B9C: D8EC4180 62000032
	ds_read_b64 v[100:101], v50 offset:16896                   // 000000008BA4: D8EC4200 64000032
	ds_read_b64 v[102:103], v50 offset:17024                   // 000000008BAC: D8EC4280 66000032
	ds_read_b64 v[104:105], v50 offset:17152                   // 000000008BB4: D8EC4300 68000032
	ds_read_b64 v[106:107], v50 offset:17280                   // 000000008BBC: D8EC4380 6A000032
	ds_read_b64 v[108:109], v50 offset:17408                   // 000000008BC4: D8EC4400 6C000032
	ds_read_b64 v[110:111], v50 offset:17536                   // 000000008BCC: D8EC4480 6E000032
	ds_read_b64 v[112:113], v50 offset:17664                   // 000000008BD4: D8EC4500 70000032
	ds_read_b64 v[114:115], v50 offset:17792                   // 000000008BDC: D8EC4580 72000032
	ds_read_b64 v[116:117], v50 offset:17920                   // 000000008BE4: D8EC4600 74000032
	ds_read_b64 v[118:119], v50 offset:18048                   // 000000008BEC: D8EC4680 76000032
	ds_read_b64 v[120:121], v50 offset:18176                   // 000000008BF4: D8EC4700 78000032
	ds_read_b64 v[122:123], v50 offset:18304                   // 000000008BFC: D8EC4780 7A000032
	ds_read_b64 v[124:125], v50 offset:18432                   // 000000008C04: D8EC4800 7C000032
	ds_read_b64 v[126:127], v50 offset:18560                   // 000000008C0C: D8EC4880 7E000032
	s_waitcnt lgkmcnt(0)                                       // 000000008C14: BF8CC07F
	v_max3_f32 v22, |v96|, |v98|, v22                          // 000000008C18: D1D30316 045AC560
	v_max3_f32 v23, |v97|, |v99|, v23                          // 000000008C20: D1D30317 045EC761
	v_max3_f32 v22, |v100|, |v102|, v22                        // 000000008C28: D1D30316 045ACD64
	v_max3_f32 v23, |v101|, |v103|, v23                        // 000000008C30: D1D30317 045ECF65
	v_max3_f32 v22, |v104|, |v106|, v22                        // 000000008C38: D1D30316 045AD568
	v_max3_f32 v23, |v105|, |v107|, v23                        // 000000008C40: D1D30317 045ED769
	v_max3_f32 v22, |v108|, |v110|, v22                        // 000000008C48: D1D30316 045ADD6C
	v_max3_f32 v23, |v109|, |v111|, v23                        // 000000008C50: D1D30317 045EDF6D
	v_max3_f32 v22, |v112|, |v114|, v22                        // 000000008C58: D1D30316 045AE570
	v_max3_f32 v23, |v113|, |v115|, v23                        // 000000008C60: D1D30317 045EE771
	v_max3_f32 v22, |v116|, |v118|, v22                        // 000000008C68: D1D30316 045AED74
	v_max3_f32 v23, |v117|, |v119|, v23                        // 000000008C70: D1D30317 045EEF75
	v_max3_f32 v22, |v120|, |v122|, v22                        // 000000008C78: D1D30316 045AF578
	v_max3_f32 v23, |v121|, |v123|, v23                        // 000000008C80: D1D30317 045EF779
	v_max3_f32 v22, |v124|, |v126|, v22                        // 000000008C88: D1D30316 045AFD7C
	v_max3_f32 v23, |v125|, |v127|, v23                        // 000000008C90: D1D30317 045EFF7D
	v_rcp_f32_e32 v22, v22                                     // 000000008C98: 7E2C4516
	v_rcp_f32_e32 v23, v23                                     // 000000008C9C: 7E2E4517
	v_mov_b32_e32 v50, 0x43700000                              // 000000008CA0: 7E6402FF 43700000
	v_mul_f32_e32 v22, v50, v22                                // 000000008CA8: 0A2C2D32
	v_mul_f32_e32 v23, v50, v23                                // 000000008CAC: 0A2E2F32
	v_mul_f32_e32 v128, v22, v128                              // 000000008CB0: 0B010116
	v_mul_f32_e32 v129, v22, v129                              // 000000008CB4: 0B030316
	v_mul_f32_e32 v130, v22, v130                              // 000000008CB8: 0B050516
	v_mul_f32_e32 v131, v22, v131                              // 000000008CBC: 0B070716
	v_cvt_pk_fp8_f32 v128, v128, v129                          // 000000008CC0: D2A20080 00030380
	v_cvt_pk_fp8_f32 v128, v130, v131 op_sel:[0,0,1]           // 000000008CC8: D2A24080 00030782
	v_mul_f32_e32 v132, v23, v132                              // 000000008CD0: 0B090917
	v_mul_f32_e32 v133, v23, v133                              // 000000008CD4: 0B0B0B17
	v_mul_f32_e32 v134, v23, v134                              // 000000008CD8: 0B0D0D17
	v_mul_f32_e32 v135, v23, v135                              // 000000008CDC: 0B0F0F17
	v_cvt_pk_fp8_f32 v129, v132, v133                          // 000000008CE0: D2A20081 00030B84
	v_cvt_pk_fp8_f32 v129, v134, v135 op_sel:[0,0,1]           // 000000008CE8: D2A24081 00030F86
	v_mul_f32_e32 v136, v22, v136                              // 000000008CF0: 0B111116
	v_mul_f32_e32 v137, v22, v137                              // 000000008CF4: 0B131316
	v_mul_f32_e32 v138, v22, v138                              // 000000008CF8: 0B151516
	v_mul_f32_e32 v139, v22, v139                              // 000000008CFC: 0B171716
	v_cvt_pk_fp8_f32 v130, v136, v137                          // 000000008D00: D2A20082 00031388
	v_cvt_pk_fp8_f32 v130, v138, v139 op_sel:[0,0,1]           // 000000008D08: D2A24082 0003178A
	v_mul_f32_e32 v140, v23, v140                              // 000000008D10: 0B191917
	v_mul_f32_e32 v141, v23, v141                              // 000000008D14: 0B1B1B17
	v_mul_f32_e32 v142, v23, v142                              // 000000008D18: 0B1D1D17
	v_mul_f32_e32 v143, v23, v143                              // 000000008D1C: 0B1F1F17
	v_cvt_pk_fp8_f32 v131, v140, v141                          // 000000008D20: D2A20083 00031B8C
	v_cvt_pk_fp8_f32 v131, v142, v143 op_sel:[0,0,1]           // 000000008D28: D2A24083 00031F8E
	v_mul_f32_e32 v144, v22, v144                              // 000000008D30: 0B212116
	v_mul_f32_e32 v145, v22, v145                              // 000000008D34: 0B232316
	v_mul_f32_e32 v146, v22, v146                              // 000000008D38: 0B252516
	v_mul_f32_e32 v147, v22, v147                              // 000000008D3C: 0B272716
	v_cvt_pk_fp8_f32 v132, v144, v145                          // 000000008D40: D2A20084 00032390
	v_cvt_pk_fp8_f32 v132, v146, v147 op_sel:[0,0,1]           // 000000008D48: D2A24084 00032792
	v_mul_f32_e32 v148, v23, v148                              // 000000008D50: 0B292917
	v_mul_f32_e32 v149, v23, v149                              // 000000008D54: 0B2B2B17
	v_mul_f32_e32 v150, v23, v150                              // 000000008D58: 0B2D2D17
	v_mul_f32_e32 v151, v23, v151                              // 000000008D5C: 0B2F2F17
	v_cvt_pk_fp8_f32 v133, v148, v149                          // 000000008D60: D2A20085 00032B94
	v_cvt_pk_fp8_f32 v133, v150, v151 op_sel:[0,0,1]           // 000000008D68: D2A24085 00032F96
	v_mul_f32_e32 v152, v22, v152                              // 000000008D70: 0B313116
	v_mul_f32_e32 v153, v22, v153                              // 000000008D74: 0B333316
	v_mul_f32_e32 v154, v22, v154                              // 000000008D78: 0B353516
	v_mul_f32_e32 v155, v22, v155                              // 000000008D7C: 0B373716
	v_cvt_pk_fp8_f32 v134, v152, v153                          // 000000008D80: D2A20086 00033398
	v_cvt_pk_fp8_f32 v134, v154, v155 op_sel:[0,0,1]           // 000000008D88: D2A24086 0003379A
	v_mul_f32_e32 v156, v23, v156                              // 000000008D90: 0B393917
	v_mul_f32_e32 v157, v23, v157                              // 000000008D94: 0B3B3B17
	v_mul_f32_e32 v158, v23, v158                              // 000000008D98: 0B3D3D17
	v_mul_f32_e32 v159, v23, v159                              // 000000008D9C: 0B3F3F17
	v_cvt_pk_fp8_f32 v135, v156, v157                          // 000000008DA0: D2A20087 00033B9C
	v_cvt_pk_fp8_f32 v135, v158, v159 op_sel:[0,0,1]           // 000000008DA8: D2A24087 00033F9E
	v_mul_f32_e32 v160, v22, v160                              // 000000008DB0: 0B414116
	v_mul_f32_e32 v161, v22, v161                              // 000000008DB4: 0B434316
	v_mul_f32_e32 v162, v22, v162                              // 000000008DB8: 0B454516
	v_mul_f32_e32 v163, v22, v163                              // 000000008DBC: 0B474716
	v_cvt_pk_fp8_f32 v136, v160, v161                          // 000000008DC0: D2A20088 000343A0
	v_cvt_pk_fp8_f32 v136, v162, v163 op_sel:[0,0,1]           // 000000008DC8: D2A24088 000347A2
	v_mul_f32_e32 v164, v23, v164                              // 000000008DD0: 0B494917
	v_mul_f32_e32 v165, v23, v165                              // 000000008DD4: 0B4B4B17
	v_mul_f32_e32 v166, v23, v166                              // 000000008DD8: 0B4D4D17
	v_mul_f32_e32 v167, v23, v167                              // 000000008DDC: 0B4F4F17
	v_cvt_pk_fp8_f32 v137, v164, v165                          // 000000008DE0: D2A20089 00034BA4
	v_cvt_pk_fp8_f32 v137, v166, v167 op_sel:[0,0,1]           // 000000008DE8: D2A24089 00034FA6
	v_mul_f32_e32 v168, v22, v168                              // 000000008DF0: 0B515116
	v_mul_f32_e32 v169, v22, v169                              // 000000008DF4: 0B535316
	v_mul_f32_e32 v170, v22, v170                              // 000000008DF8: 0B555516
	v_mul_f32_e32 v171, v22, v171                              // 000000008DFC: 0B575716
	v_cvt_pk_fp8_f32 v138, v168, v169                          // 000000008E00: D2A2008A 000353A8
	v_cvt_pk_fp8_f32 v138, v170, v171 op_sel:[0,0,1]           // 000000008E08: D2A2408A 000357AA
	v_mul_f32_e32 v172, v23, v172                              // 000000008E10: 0B595917
	v_mul_f32_e32 v173, v23, v173                              // 000000008E14: 0B5B5B17
	v_mul_f32_e32 v174, v23, v174                              // 000000008E18: 0B5D5D17
	v_mul_f32_e32 v175, v23, v175                              // 000000008E1C: 0B5F5F17
	v_cvt_pk_fp8_f32 v139, v172, v173                          // 000000008E20: D2A2008B 00035BAC
	v_cvt_pk_fp8_f32 v139, v174, v175 op_sel:[0,0,1]           // 000000008E28: D2A2408B 00035FAE
	v_rcp_f32_e32 v24, v22                                     // 000000008E30: 7E304516
	v_rcp_f32_e32 v25, v23                                     // 000000008E34: 7E324517
	v_lshrrev_b32_e32 v50, 5, v0                               // 000000008E38: 20640085
	v_lshlrev_b32_e32 v51, 5, v50                              // 000000008E3C: 24666485
	v_and_b32_e32 v50, 31, v0                                  // 000000008E40: 2664009F
	v_lshrrev_b32_e32 v52, 4, v50                              // 000000008E44: 20686484
	v_add_u32_e32 v51, v52, v51                                // 000000008E48: 68666734
	v_and_b32_e32 v50, 15, v0                                  // 000000008E4C: 2664008F
	v_lshlrev_b32_e32 v50, 1, v50                              // 000000008E50: 24646481
	v_add_u32_e32 v51, v50, v51                                // 000000008E54: 68666732
	v_lshlrev_b32_e32 v50, 2, v51                              // 000000008E58: 24646682
	s_mul_i32 s60, 0x100, s7                                   // 000000008E5C: 923C07FF 00000100
	v_add_u32_e64 v50, v50, s60                                // 000000008E64: D1340032 00007932
	ds_write_b32 v50, v128 offset:18688                        // 000000008E6C: D81A4900 00008032
	ds_write_b32 v50, v129 offset:24832                        // 000000008E74: D81A6100 00008132
	ds_write_b32 v50, v130 offset:19712                        // 000000008E7C: D81A4D00 00008232
	ds_write_b32 v50, v131 offset:25856                        // 000000008E84: D81A6500 00008332
	ds_write_b32 v50, v132 offset:20736                        // 000000008E8C: D81A5100 00008432
	ds_write_b32 v50, v133 offset:26880                        // 000000008E94: D81A6900 00008532
	ds_write_b32 v50, v134 offset:21760                        // 000000008E9C: D81A5500 00008632
	ds_write_b32 v50, v135 offset:27904                        // 000000008EA4: D81A6D00 00008732
	ds_write_b32 v50, v136 offset:22784                        // 000000008EAC: D81A5900 00008832
	ds_write_b32 v50, v137 offset:28928                        // 000000008EB4: D81A7100 00008932
	ds_write_b32 v50, v138 offset:23808                        // 000000008EBC: D81A5D00 00008A32
	ds_write_b32 v50, v139 offset:29952                        // 000000008EC4: D81A7500 00008B32
	s_waitcnt lgkmcnt(0)                                       // 000000008ECC: BF8CC07F
	s_barrier                                                  // 000000008ED0: BF8A0000
	v_lshrrev_b32_e32 v50, 4, v0                               // 000000008ED4: 20640084
	v_lshlrev_b32_e32 v51, 6, v50                              // 000000008ED8: 24666486
	v_and_b32_e32 v50, 15, v0                                  // 000000008EDC: 2664008F
	v_lshlrev_b32_e32 v50, 1, v50                              // 000000008EE0: 24646481
	v_add_u32_e32 v51, v50, v51                                // 000000008EE4: 68666732
	v_lshlrev_b32_e32 v50, 2, v51                              // 000000008EE8: 24646682
	ds_read_b64 v[128:129], v50 offset:18688                   // 000000008EEC: D8EC4900 80000032
	ds_read_b64 v[130:131], v50 offset:18816                   // 000000008EF4: D8EC4980 82000032
	ds_read_b64 v[132:133], v50 offset:19712                   // 000000008EFC: D8EC4D00 84000032
	ds_read_b64 v[134:135], v50 offset:19840                   // 000000008F04: D8EC4D80 86000032
	ds_read_b64 v[136:137], v50 offset:20736                   // 000000008F0C: D8EC5100 88000032
	ds_read_b64 v[138:139], v50 offset:20864                   // 000000008F14: D8EC5180 8A000032
	ds_read_b64 v[140:141], v50 offset:21760                   // 000000008F1C: D8EC5500 8C000032
	ds_read_b64 v[142:143], v50 offset:21888                   // 000000008F24: D8EC5580 8E000032
	ds_read_b64 v[144:145], v50 offset:22784                   // 000000008F2C: D8EC5900 90000032
	ds_read_b64 v[146:147], v50 offset:22912                   // 000000008F34: D8EC5980 92000032
	ds_read_b64 v[148:149], v50 offset:23808                   // 000000008F3C: D8EC5D00 94000032
	ds_read_b64 v[150:151], v50 offset:23936                   // 000000008F44: D8EC5D80 96000032
	ds_read_b64 v[152:153], v50 offset:24832                   // 000000008F4C: D8EC6100 98000032
	ds_read_b64 v[154:155], v50 offset:24960                   // 000000008F54: D8EC6180 9A000032
	ds_read_b64 v[156:157], v50 offset:25856                   // 000000008F5C: D8EC6500 9C000032
	ds_read_b64 v[158:159], v50 offset:25984                   // 000000008F64: D8EC6580 9E000032
	ds_read_b64 v[160:161], v50 offset:26880                   // 000000008F6C: D8EC6900 A0000032
	ds_read_b64 v[162:163], v50 offset:27008                   // 000000008F74: D8EC6980 A2000032
	ds_read_b64 v[164:165], v50 offset:27904                   // 000000008F7C: D8EC6D00 A4000032
	ds_read_b64 v[166:167], v50 offset:28032                   // 000000008F84: D8EC6D80 A6000032
	ds_read_b64 v[168:169], v50 offset:28928                   // 000000008F8C: D8EC7100 A8000032
	ds_read_b64 v[170:171], v50 offset:29056                   // 000000008F94: D8EC7180 AA000032
	ds_read_b64 v[172:173], v50 offset:29952                   // 000000008F9C: D8EC7500 AC000032
	ds_read_b64 v[174:175], v50 offset:30080                   // 000000008FA4: D8EC7580 AE000032
	s_add_u32 s12, s56, s12                                    // 000000008FAC: 800C0C38
	s_addc_u32 s13, 0, s13                                     // 000000008FB0: 820D0D80
	s_add_u32 s16, s79, s16                                    // 000000008FB4: 8010104F
	s_addc_u32 s17, 0, s17                                     // 000000008FB8: 82111180
	s_waitcnt lgkmcnt(0)                                       // 000000008FBC: BF8CC07F
	s_barrier                                                  // 000000008FC0: BF8A0000
	v_mov_b32_e32 v176, 0                                      // 000000008FC4: 7F600280
	v_mov_b32_e32 v208, 0                                      // 000000008FC8: 7FA00280
	v_mov_b32_e32 v177, 0                                      // 000000008FCC: 7F620280
	v_mov_b32_e32 v209, 0                                      // 000000008FD0: 7FA20280
	v_mov_b32_e32 v178, 0                                      // 000000008FD4: 7F640280
	v_mov_b32_e32 v210, 0                                      // 000000008FD8: 7FA40280
	v_mov_b32_e32 v179, 0                                      // 000000008FDC: 7F660280
	v_mov_b32_e32 v211, 0                                      // 000000008FE0: 7FA60280
	v_mov_b32_e32 v180, 0                                      // 000000008FE4: 7F680280
	v_mov_b32_e32 v212, 0                                      // 000000008FE8: 7FA80280
	v_mov_b32_e32 v181, 0                                      // 000000008FEC: 7F6A0280
	v_mov_b32_e32 v213, 0                                      // 000000008FF0: 7FAA0280
	v_mov_b32_e32 v182, 0                                      // 000000008FF4: 7F6C0280
	v_mov_b32_e32 v214, 0                                      // 000000008FF8: 7FAC0280
	v_mov_b32_e32 v183, 0                                      // 000000008FFC: 7F6E0280
	v_mov_b32_e32 v215, 0                                      // 000000009000: 7FAE0280
	v_mov_b32_e32 v184, 0                                      // 000000009004: 7F700280
	v_mov_b32_e32 v216, 0                                      // 000000009008: 7FB00280
	v_mov_b32_e32 v185, 0                                      // 00000000900C: 7F720280
	v_mov_b32_e32 v217, 0                                      // 000000009010: 7FB20280
	v_mov_b32_e32 v186, 0                                      // 000000009014: 7F740280
	v_mov_b32_e32 v218, 0                                      // 000000009018: 7FB40280
	v_mov_b32_e32 v187, 0                                      // 00000000901C: 7F760280
	v_mov_b32_e32 v219, 0                                      // 000000009020: 7FB60280
	v_mov_b32_e32 v188, 0                                      // 000000009024: 7F780280
	v_mov_b32_e32 v220, 0                                      // 000000009028: 7FB80280
	v_mov_b32_e32 v189, 0                                      // 00000000902C: 7F7A0280
	v_mov_b32_e32 v221, 0                                      // 000000009030: 7FBA0280
	v_mov_b32_e32 v190, 0                                      // 000000009034: 7F7C0280
	v_mov_b32_e32 v222, 0                                      // 000000009038: 7FBC0280
	v_mov_b32_e32 v191, 0                                      // 00000000903C: 7F7E0280
	v_mov_b32_e32 v223, 0                                      // 000000009040: 7FBE0280
	ds_write_b64 v3, v[176:177] offset:18688                   // 000000009044: D89A4900 0000B003
	ds_write_b64 v3, v[178:179] offset:27392                   // 00000000904C: D89A6B00 0000B203
	ds_write_b64 v3, v[180:181] offset:20864                   // 000000009054: D89A5180 0000B403
	ds_write_b64 v3, v[182:183] offset:29568                   // 00000000905C: D89A7380 0000B603
	ds_write_b64 v3, v[184:185] offset:23040                   // 000000009064: D89A5A00 0000B803
	ds_write_b64 v3, v[186:187] offset:31744                   // 00000000906C: D89A7C00 0000BA03
	ds_write_b64 v3, v[188:189] offset:25216                   // 000000009074: D89A6280 0000BC03
	ds_write_b64 v3, v[190:191] offset:33920                   // 00000000907C: D89A8480 0000BE03
	s_mov_b32 s80, 0                                           // 000000009084: BED00080
	s_waitcnt vmcnt(0) expcnt(0) lgkmcnt(0)                    // 000000009088: BF8C0000

000000000000908c <label_18A3>:
	s_waitcnt vmcnt(21) lgkmcnt(0)                             // 00000000908C: BF8C4075
	s_barrier                                                  // 000000009090: BF8A0000
	v_mfma_f32_16x16x32_fp8_fp8 v[176:179], a[0:1], v[128:129], 0// 000000009094: D3F300B0 0A030100
	buffer_load_dwordx4 a[96:99], v40, s[12:15], 0 offen       // 00000000909C: E05C1000 80836028
	v_mfma_f32_16x16x32_fp8_fp8 v[176:179], a[2:3], v[130:131], v[176:179]// 0000000090A4: D3F300B0 0EC30502
	ds_read_b32 v64, v4 offset:18688                           // 0000000090AC: D86C4900 40000004
	ds_read_b32 v65, v4 offset:23040                           // 0000000090B4: D86C5A00 41000004
	v_mfma_f32_16x16x32_fp8_fp8 v[180:183], a[0:1], v[152:153], 0// 0000000090BC: D3F300B4 0A033100
	v_mfma_f32_16x16x32_fp8_fp8 v[180:183], a[2:3], v[154:155], v[180:183]// 0000000090C4: D3F300B4 0ED33502
	ds_read_b32 v66, v4 offset:18720                           // 0000000090CC: D86C4920 42000004
	ds_read_b32 v67, v4 offset:23072                           // 0000000090D4: D86C5A20 43000004
	v_mfma_f32_16x16x32_fp8_fp8 v[184:187], a[4:5], v[128:129], 0// 0000000090DC: D3F300B8 0A030104
	buffer_load_dwordx4 a[100:103], v41, s[12:15], 0 offen     // 0000000090E4: E05C1000 80836429
	v_mfma_f32_16x16x32_fp8_fp8 v[184:187], a[6:7], v[130:131], v[184:187]// 0000000090EC: D3F300B8 0EE30506
	ds_read_b32 v68, v4 offset:18752                           // 0000000090F4: D86C4940 44000004
	ds_read_b32 v69, v4 offset:23104                           // 0000000090FC: D86C5A40 45000004
	v_mfma_f32_16x16x32_fp8_fp8 v[188:191], a[4:5], v[152:153], 0// 000000009104: D3F300BC 0A033104
	v_mfma_f32_16x16x32_fp8_fp8 v[188:191], a[6:7], v[154:155], v[188:191]// 00000000910C: D3F300BC 0EF33506
	ds_read_b32 v70, v4 offset:18784                           // 000000009114: D86C4960 46000004
	ds_read_b32 v71, v4 offset:23136                           // 00000000911C: D86C5A60 47000004
	v_mfma_f32_16x16x32_fp8_fp8 v[192:195], a[8:9], v[128:129], 0// 000000009124: D3F300C0 0A030108
	buffer_load_dwordx4 a[104:107], v42, s[12:15], 0 offen     // 00000000912C: E05C1000 8083682A
	v_mfma_f32_16x16x32_fp8_fp8 v[192:195], a[10:11], v[130:131], v[192:195]// 000000009134: D3F300C0 0F03050A
	ds_read_b32 v72, v4 offset:27392                           // 00000000913C: D86C6B00 48000004
	ds_read_b32 v73, v4 offset:31744                           // 000000009144: D86C7C00 49000004
	v_mfma_f32_16x16x32_fp8_fp8 v[196:199], a[8:9], v[152:153], 0// 00000000914C: D3F300C4 0A033108
	v_mfma_f32_16x16x32_fp8_fp8 v[196:199], a[10:11], v[154:155], v[196:199]// 000000009154: D3F300C4 0F13350A
	ds_read_b32 v74, v4 offset:27424                           // 00000000915C: D86C6B20 4A000004
	ds_read_b32 v75, v4 offset:31776                           // 000000009164: D86C7C20 4B000004
	v_mfma_f32_16x16x32_fp8_fp8 v[200:203], a[12:13], v[128:129], 0// 00000000916C: D3F300C8 0A03010C
	buffer_load_dwordx4 a[108:111], v43, s[12:15], 0 offen     // 000000009174: E05C1000 80836C2B
	s_add_u32 s12, s78, s12                                    // 00000000917C: 800C0C4E
	s_addc_u32 s13, 0, s13                                     // 000000009180: 820D0D80
	v_mfma_f32_16x16x32_fp8_fp8 v[200:203], a[14:15], v[130:131], v[200:203]// 000000009184: D3F300C8 0F23050E
	ds_read_b32 v76, v4 offset:27456                           // 00000000918C: D86C6B40 4C000004
	ds_read_b32 v77, v4 offset:31808                           // 000000009194: D86C7C40 4D000004
	v_mfma_f32_16x16x32_fp8_fp8 v[204:207], a[12:13], v[152:153], 0// 00000000919C: D3F300CC 0A03310C
	v_mfma_f32_16x16x32_fp8_fp8 v[204:207], a[14:15], v[154:155], v[204:207]// 0000000091A4: D3F300CC 0F33350E
	ds_read_b32 v78, v4 offset:27488                           // 0000000091AC: D86C6B60 4E000004
	ds_read_b32 v79, v4 offset:31840                           // 0000000091B4: D86C7C60 4F000004
	s_waitcnt vmcnt(21)                                        // 0000000091BC: BF8C4F75
	v_mfma_f32_16x16x32_fp8_fp8 v[176:179], a[16:17], v[132:133], v[176:179]// 0000000091C0: D3F300B0 0EC30910
	buffer_load_dwordx4 a[112:115], v40, s[12:15], 0 offen     // 0000000091C8: E05C1000 80837028
	v_mfma_f32_16x16x32_fp8_fp8 v[176:179], a[18:19], v[134:135], v[176:179]// 0000000091D0: D3F300B0 0EC30D12
	v_mfma_f32_16x16x32_fp8_fp8 v[180:183], a[16:17], v[156:157], v[180:183]// 0000000091D8: D3F300B4 0ED33910
	v_mfma_f32_16x16x32_fp8_fp8 v[180:183], a[18:19], v[158:159], v[180:183]// 0000000091E0: D3F300B4 0ED33D12
	v_mfma_f32_16x16x32_fp8_fp8 v[184:187], a[20:21], v[132:133], v[184:187]// 0000000091E8: D3F300B8 0EE30914
	buffer_load_dwordx4 a[116:119], v41, s[12:15], 0 offen     // 0000000091F0: E05C1000 80837429
	v_mfma_f32_16x16x32_fp8_fp8 v[184:187], a[22:23], v[134:135], v[184:187]// 0000000091F8: D3F300B8 0EE30D16
	v_mfma_f32_16x16x32_fp8_fp8 v[188:191], a[20:21], v[156:157], v[188:191]// 000000009200: D3F300BC 0EF33914
	v_mfma_f32_16x16x32_fp8_fp8 v[188:191], a[22:23], v[158:159], v[188:191]// 000000009208: D3F300BC 0EF33D16
	v_mfma_f32_16x16x32_fp8_fp8 v[192:195], a[24:25], v[132:133], v[192:195]// 000000009210: D3F300C0 0F030918
	buffer_load_dwordx4 a[120:123], v42, s[12:15], 0 offen     // 000000009218: E05C1000 8083782A
	v_mfma_f32_16x16x32_fp8_fp8 v[192:195], a[26:27], v[134:135], v[192:195]// 000000009220: D3F300C0 0F030D1A
	v_mfma_f32_16x16x32_fp8_fp8 v[196:199], a[24:25], v[156:157], v[196:199]// 000000009228: D3F300C4 0F133918
	v_mfma_f32_16x16x32_fp8_fp8 v[196:199], a[26:27], v[158:159], v[196:199]// 000000009230: D3F300C4 0F133D1A
	v_mfma_f32_16x16x32_fp8_fp8 v[200:203], a[28:29], v[132:133], v[200:203]// 000000009238: D3F300C8 0F23091C
	buffer_load_dwordx4 a[124:127], v43, s[12:15], 0 offen     // 000000009240: E05C1000 80837C2B
	s_add_u32 s12, s78, s12                                    // 000000009248: 800C0C4E
	s_addc_u32 s13, 0, s13                                     // 00000000924C: 820D0D80
	v_mfma_f32_16x16x32_fp8_fp8 v[200:203], a[30:31], v[134:135], v[200:203]// 000000009250: D3F300C8 0F230D1E
	v_mfma_f32_16x16x32_fp8_fp8 v[204:207], a[28:29], v[156:157], v[204:207]// 000000009258: D3F300CC 0F33391C
	v_mfma_f32_16x16x32_fp8_fp8 v[204:207], a[30:31], v[158:159], v[204:207]// 000000009260: D3F300CC 0F333D1E
	s_waitcnt vmcnt(21)                                        // 000000009268: BF8C4F75
	v_mfma_f32_16x16x32_fp8_fp8 v[176:179], a[32:33], v[136:137], v[176:179]// 00000000926C: D3F300B0 0EC31120
	buffer_load_dwordx4 a[128:131], v40, s[12:15], 0 offen     // 000000009274: E05C1000 80838028
	v_mfma_f32_16x16x32_fp8_fp8 v[176:179], a[34:35], v[138:139], v[176:179]// 00000000927C: D3F300B0 0EC31522
	ds_write_b64 v3, v[208:209] offset:36096                   // 000000009284: D89A8D00 0000D003
	v_mfma_f32_16x16x32_fp8_fp8 v[180:183], a[32:33], v[160:161], v[180:183]// 00000000928C: D3F300B4 0ED34120
	v_mfma_f32_16x16x32_fp8_fp8 v[180:183], a[34:35], v[162:163], v[180:183]// 000000009294: D3F300B4 0ED34522
	ds_write_b64 v3, v[210:211] offset:44800                   // 00000000929C: D89AAF00 0000D203
	v_mfma_f32_16x16x32_fp8_fp8 v[184:187], a[36:37], v[136:137], v[184:187]// 0000000092A4: D3F300B8 0EE31124
	buffer_load_dwordx4 a[132:135], v41, s[12:15], 0 offen     // 0000000092AC: E05C1000 80838429
	v_mfma_f32_16x16x32_fp8_fp8 v[184:187], a[38:39], v[138:139], v[184:187]// 0000000092B4: D3F300B8 0EE31526
	ds_write_b64 v3, v[212:213] offset:38272                   // 0000000092BC: D89A9580 0000D403
	v_mfma_f32_16x16x32_fp8_fp8 v[188:191], a[36:37], v[160:161], v[188:191]// 0000000092C4: D3F300BC 0EF34124
	v_mfma_f32_16x16x32_fp8_fp8 v[188:191], a[38:39], v[162:163], v[188:191]// 0000000092CC: D3F300BC 0EF34526
	ds_write_b64 v3, v[214:215] offset:46976                   // 0000000092D4: D89AB780 0000D603
	v_mfma_f32_16x16x32_fp8_fp8 v[192:195], a[40:41], v[136:137], v[192:195]// 0000000092DC: D3F300C0 0F031128
	buffer_load_dwordx4 a[136:139], v42, s[12:15], 0 offen     // 0000000092E4: E05C1000 8083882A
	v_mfma_f32_16x16x32_fp8_fp8 v[192:195], a[42:43], v[138:139], v[192:195]// 0000000092EC: D3F300C0 0F03152A
	ds_write_b64 v3, v[216:217] offset:40448                   // 0000000092F4: D89A9E00 0000D803
	v_mfma_f32_16x16x32_fp8_fp8 v[196:199], a[40:41], v[160:161], v[196:199]// 0000000092FC: D3F300C4 0F134128
	v_mfma_f32_16x16x32_fp8_fp8 v[196:199], a[42:43], v[162:163], v[196:199]// 000000009304: D3F300C4 0F13452A
	ds_write_b64 v3, v[218:219] offset:49152                   // 00000000930C: D89AC000 0000DA03
	v_mfma_f32_16x16x32_fp8_fp8 v[200:203], a[44:45], v[136:137], v[200:203]// 000000009314: D3F300C8 0F23112C
	buffer_load_dwordx4 a[140:143], v43, s[12:15], 0 offen     // 00000000931C: E05C1000 80838C2B
	s_add_u32 s12, s78, s12                                    // 000000009324: 800C0C4E
	s_addc_u32 s13, 0, s13                                     // 000000009328: 820D0D80
	v_mfma_f32_16x16x32_fp8_fp8 v[200:203], a[46:47], v[138:139], v[200:203]// 00000000932C: D3F300C8 0F23152E
	ds_write_b64 v3, v[220:221] offset:42624                   // 000000009334: D89AA680 0000DC03
	v_mfma_f32_16x16x32_fp8_fp8 v[204:207], a[44:45], v[160:161], v[204:207]// 00000000933C: D3F300CC 0F33412C
	v_mfma_f32_16x16x32_fp8_fp8 v[204:207], a[46:47], v[162:163], v[204:207]// 000000009344: D3F300CC 0F33452E
	ds_write_b64 v3, v[222:223] offset:51328                   // 00000000934C: D89AC880 0000DE03
	s_waitcnt vmcnt(21)                                        // 000000009354: BF8C4F75
	v_mfma_f32_16x16x32_fp8_fp8 v[176:179], a[48:49], v[140:141], v[176:179]// 000000009358: D3F300B0 0EC31930
	buffer_load_dwordx4 a[144:147], v40, s[12:15], 0 offen     // 000000009360: E05C1000 80839028
	v_mfma_f32_16x16x32_fp8_fp8 v[176:179], a[50:51], v[142:143], v[176:179]// 000000009368: D3F300B0 0EC31D32
	v_mfma_f32_16x16x32_fp8_fp8 v[180:183], a[48:49], v[164:165], v[180:183]// 000000009370: D3F300B4 0ED34930
	v_mfma_f32_16x16x32_fp8_fp8 v[180:183], a[50:51], v[166:167], v[180:183]// 000000009378: D3F300B4 0ED34D32
	v_mfma_f32_16x16x32_fp8_fp8 v[184:187], a[52:53], v[140:141], v[184:187]// 000000009380: D3F300B8 0EE31934
	buffer_load_dwordx4 a[148:151], v41, s[12:15], 0 offen     // 000000009388: E05C1000 80839429
	v_mfma_f32_16x16x32_fp8_fp8 v[184:187], a[54:55], v[142:143], v[184:187]// 000000009390: D3F300B8 0EE31D36
	v_mfma_f32_16x16x32_fp8_fp8 v[188:191], a[52:53], v[164:165], v[188:191]// 000000009398: D3F300BC 0EF34934
	v_mfma_f32_16x16x32_fp8_fp8 v[188:191], a[54:55], v[166:167], v[188:191]// 0000000093A0: D3F300BC 0EF34D36
	v_mfma_f32_16x16x32_fp8_fp8 v[192:195], a[56:57], v[140:141], v[192:195]// 0000000093A8: D3F300C0 0F031938
	buffer_load_dwordx4 a[152:155], v42, s[12:15], 0 offen     // 0000000093B0: E05C1000 8083982A
	v_mfma_f32_16x16x32_fp8_fp8 v[192:195], a[58:59], v[142:143], v[192:195]// 0000000093B8: D3F300C0 0F031D3A
	v_mfma_f32_16x16x32_fp8_fp8 v[196:199], a[56:57], v[164:165], v[196:199]// 0000000093C0: D3F300C4 0F134938
	v_mfma_f32_16x16x32_fp8_fp8 v[196:199], a[58:59], v[166:167], v[196:199]// 0000000093C8: D3F300C4 0F134D3A
	v_mfma_f32_16x16x32_fp8_fp8 v[200:203], a[60:61], v[140:141], v[200:203]// 0000000093D0: D3F300C8 0F23193C
	buffer_load_dwordx4 a[156:159], v43, s[12:15], 0 offen     // 0000000093D8: E05C1000 80839C2B
	s_add_u32 s12, s78, s12                                    // 0000000093E0: 800C0C4E
	s_addc_u32 s13, 0, s13                                     // 0000000093E4: 820D0D80
	v_mfma_f32_16x16x32_fp8_fp8 v[200:203], a[62:63], v[142:143], v[200:203]// 0000000093E8: D3F300C8 0F231D3E
	v_mfma_f32_16x16x32_fp8_fp8 v[204:207], a[60:61], v[164:165], v[204:207]// 0000000093F0: D3F300CC 0F33493C
	v_mfma_f32_16x16x32_fp8_fp8 v[204:207], a[62:63], v[166:167], v[204:207]// 0000000093F8: D3F300CC 0F334D3E
	s_waitcnt vmcnt(21)                                        // 000000009400: BF8C4F75
	v_mfma_f32_16x16x32_fp8_fp8 v[176:179], a[64:65], v[144:145], v[176:179]// 000000009404: D3F300B0 0EC32140
	buffer_load_dwordx4 a[160:163], v40, s[12:15], 0 offen     // 00000000940C: E05C1000 8083A028
	v_mfma_f32_16x16x32_fp8_fp8 v[176:179], a[66:67], v[146:147], v[176:179]// 000000009414: D3F300B0 0EC32542
	v_mfma_f32_16x16x32_fp8_fp8 v[180:183], a[64:65], v[168:169], v[180:183]// 00000000941C: D3F300B4 0ED35140
	v_mfma_f32_16x16x32_fp8_fp8 v[180:183], a[66:67], v[170:171], v[180:183]// 000000009424: D3F300B4 0ED35542
	v_mfma_f32_16x16x32_fp8_fp8 v[184:187], a[68:69], v[144:145], v[184:187]// 00000000942C: D3F300B8 0EE32144
	buffer_load_dwordx4 a[164:167], v41, s[12:15], 0 offen     // 000000009434: E05C1000 8083A429
	v_mfma_f32_16x16x32_fp8_fp8 v[184:187], a[70:71], v[146:147], v[184:187]// 00000000943C: D3F300B8 0EE32546
	v_mfma_f32_16x16x32_fp8_fp8 v[188:191], a[68:69], v[168:169], v[188:191]// 000000009444: D3F300BC 0EF35144
	v_mfma_f32_16x16x32_fp8_fp8 v[188:191], a[70:71], v[170:171], v[188:191]// 00000000944C: D3F300BC 0EF35546
	v_mfma_f32_16x16x32_fp8_fp8 v[192:195], a[72:73], v[144:145], v[192:195]// 000000009454: D3F300C0 0F032148
	buffer_load_dwordx4 a[168:171], v42, s[12:15], 0 offen     // 00000000945C: E05C1000 8083A82A
	v_mfma_f32_16x16x32_fp8_fp8 v[192:195], a[74:75], v[146:147], v[192:195]// 000000009464: D3F300C0 0F03254A
	v_mfma_f32_16x16x32_fp8_fp8 v[196:199], a[72:73], v[168:169], v[196:199]// 00000000946C: D3F300C4 0F135148
	v_mfma_f32_16x16x32_fp8_fp8 v[196:199], a[74:75], v[170:171], v[196:199]// 000000009474: D3F300C4 0F13554A
	v_mfma_f32_16x16x32_fp8_fp8 v[200:203], a[76:77], v[144:145], v[200:203]// 00000000947C: D3F300C8 0F23214C
	buffer_load_dwordx4 a[172:175], v43, s[12:15], 0 offen     // 000000009484: E05C1000 8083AC2B
	s_add_u32 s12, s78, s12                                    // 00000000948C: 800C0C4E
	s_addc_u32 s13, 0, s13                                     // 000000009490: 820D0D80
	v_mfma_f32_16x16x32_fp8_fp8 v[200:203], a[78:79], v[146:147], v[200:203]// 000000009494: D3F300C8 0F23254E
	v_mfma_f32_16x16x32_fp8_fp8 v[204:207], a[76:77], v[168:169], v[204:207]// 00000000949C: D3F300CC 0F33514C
	v_mfma_f32_16x16x32_fp8_fp8 v[204:207], a[78:79], v[170:171], v[204:207]// 0000000094A4: D3F300CC 0F33554E
	s_waitcnt vmcnt(20)                                        // 0000000094AC: BF8C4F74
	v_mfma_f32_16x16x32_fp8_fp8 v[176:179], a[80:81], v[148:149], v[176:179]// 0000000094B0: D3F300B0 0EC32950
	buffer_load_dwordx4 a[176:179], v40, s[12:15], 0 offen     // 0000000094B8: E05C1000 8083B028
	v_mfma_f32_16x16x32_fp8_fp8 v[176:179], a[82:83], v[150:151], v[176:179]// 0000000094C0: D3F300B0 0EC32D52
	v_mfma_f32_16x16x32_fp8_fp8 v[180:183], a[80:81], v[172:173], v[180:183]// 0000000094C8: D3F300B4 0ED35950
	buffer_load_dword v13, v5, s[16:19], 0 offen               // 0000000094D0: E0501000 80040D05
	v_mfma_f32_16x16x32_fp8_fp8 v[180:183], a[82:83], v[174:175], v[180:183]// 0000000094D8: D3F300B4 0ED35D52
	v_mfma_f32_16x16x32_fp8_fp8 v[184:187], a[84:85], v[148:149], v[184:187]// 0000000094E0: D3F300B8 0EE32954
	buffer_load_dwordx4 a[180:183], v41, s[12:15], 0 offen     // 0000000094E8: E05C1000 8083B429
	v_mfma_f32_16x16x32_fp8_fp8 v[184:187], a[86:87], v[150:151], v[184:187]// 0000000094F0: D3F300B8 0EE32D56
	v_mfma_f32_16x16x32_fp8_fp8 v[188:191], a[84:85], v[172:173], v[188:191]// 0000000094F8: D3F300BC 0EF35954
	v_mfma_f32_16x16x32_fp8_fp8 v[188:191], a[86:87], v[174:175], v[188:191]// 000000009500: D3F300BC 0EF35D56
	v_mfma_f32_16x16x32_fp8_fp8 v[192:195], a[88:89], v[148:149], v[192:195]// 000000009508: D3F300C0 0F032958
	buffer_load_dwordx4 a[184:187], v42, s[12:15], 0 offen     // 000000009510: E05C1000 8083B82A
	v_mfma_f32_16x16x32_fp8_fp8 v[192:195], a[90:91], v[150:151], v[192:195]// 000000009518: D3F300C0 0F032D5A
	v_mfma_f32_16x16x32_fp8_fp8 v[196:199], a[88:89], v[172:173], v[196:199]// 000000009520: D3F300C4 0F135958
	v_mfma_f32_16x16x32_fp8_fp8 v[196:199], a[90:91], v[174:175], v[196:199]// 000000009528: D3F300C4 0F135D5A
	v_mfma_f32_16x16x32_fp8_fp8 v[200:203], a[92:93], v[148:149], v[200:203]// 000000009530: D3F300C8 0F23295C
	buffer_load_dwordx4 a[188:191], v43, s[12:15], 0 offen     // 000000009538: E05C1000 8083BC2B
	v_mfma_f32_16x16x32_fp8_fp8 v[200:203], a[94:95], v[150:151], v[200:203]// 000000009540: D3F300C8 0F232D5E
	v_mfma_f32_16x16x32_fp8_fp8 v[204:207], a[92:93], v[172:173], v[204:207]// 000000009548: D3F300CC 0F33595C
	v_mfma_f32_16x16x32_fp8_fp8 v[204:207], a[94:95], v[174:175], v[204:207]// 000000009550: D3F300CC 0F335D5E
	s_add_u32 s60, 0x200, s80                                  // 000000009558: 803C50FF 00000200
	s_cmp_lt_u32 s60, s81                                      // 000000009560: BF0A513C
	s_cselect_b32 s56, s56, 0                                  // 000000009564: 85388038
	s_cselect_b32 s78, s78, 0                                  // 000000009568: 854E804E
	s_cselect_b32 s79, s79, 0                                  // 00000000956C: 854F804F
	s_add_u32 s12, s56, s12                                    // 000000009570: 800C0C38
	s_addc_u32 s13, 0, s13                                     // 000000009574: 820D0D80
	s_add_u32 s16, s79, s16                                    // 000000009578: 8010104F
	s_addc_u32 s17, 0, s17                                     // 00000000957C: 82111180
	v_mul_f32_e32 v176, v24, v176                              // 000000009580: 0B616118
	v_mul_f32_e32 v177, v24, v177                              // 000000009584: 0B636318
	v_mul_f32_e32 v178, v24, v178                              // 000000009588: 0B656518
	v_mul_f32_e32 v179, v24, v179                              // 00000000958C: 0B676718
	v_mul_f32_dpp v176, v12, v176 row_newbcast:0 row_mask:0xf bank_mask:0xf// 000000009590: 0B6160FA FF01500C
	v_mul_f32_dpp v177, v12, v177 row_newbcast:1 row_mask:0xf bank_mask:0xf// 000000009598: 0B6362FA FF01510C
	v_mul_f32_dpp v178, v12, v178 row_newbcast:2 row_mask:0xf bank_mask:0xf// 0000000095A0: 0B6564FA FF01520C
	v_mul_f32_dpp v179, v12, v179 row_newbcast:3 row_mask:0xf bank_mask:0xf// 0000000095A8: 0B6766FA FF01530C
	v_mul_f32_e32 v176, v20, v176                              // 0000000095B0: 0B616114
	v_mul_f32_e32 v177, v20, v177                              // 0000000095B4: 0B636314
	v_mul_f32_e32 v178, v20, v178                              // 0000000095B8: 0B656514
	v_mul_f32_e32 v179, v20, v179                              // 0000000095BC: 0B676714
	v_mul_f32_e32 v180, v25, v180                              // 0000000095C0: 0B696919
	v_mul_f32_e32 v181, v25, v181                              // 0000000095C4: 0B6B6B19
	v_mul_f32_e32 v182, v25, v182                              // 0000000095C8: 0B6D6D19
	v_mul_f32_e32 v183, v25, v183                              // 0000000095CC: 0B6F6F19
	v_mul_f32_dpp v180, v12, v180 row_newbcast:0 row_mask:0xf bank_mask:0xf// 0000000095D0: 0B6968FA FF01500C
	v_mul_f32_dpp v181, v12, v181 row_newbcast:1 row_mask:0xf bank_mask:0xf// 0000000095D8: 0B6B6AFA FF01510C
	v_mul_f32_dpp v182, v12, v182 row_newbcast:2 row_mask:0xf bank_mask:0xf// 0000000095E0: 0B6D6CFA FF01520C
	v_mul_f32_dpp v183, v12, v183 row_newbcast:3 row_mask:0xf bank_mask:0xf// 0000000095E8: 0B6F6EFA FF01530C
	v_mul_f32_e32 v180, v21, v180                              // 0000000095F0: 0B696915
	v_mul_f32_e32 v181, v21, v181                              // 0000000095F4: 0B6B6B15
	v_mul_f32_e32 v182, v21, v182                              // 0000000095F8: 0B6D6D15
	v_mul_f32_e32 v183, v21, v183                              // 0000000095FC: 0B6F6F15
	v_mul_f32_e32 v184, v24, v184                              // 000000009600: 0B717118
	v_mul_f32_e32 v185, v24, v185                              // 000000009604: 0B737318
	v_mul_f32_e32 v186, v24, v186                              // 000000009608: 0B757518
	v_mul_f32_e32 v187, v24, v187                              // 00000000960C: 0B777718
	v_mul_f32_dpp v184, v12, v184 row_newbcast:4 row_mask:0xf bank_mask:0xf// 000000009610: 0B7170FA FF01540C
	v_mul_f32_dpp v185, v12, v185 row_newbcast:5 row_mask:0xf bank_mask:0xf// 000000009618: 0B7372FA FF01550C
	v_mul_f32_dpp v186, v12, v186 row_newbcast:6 row_mask:0xf bank_mask:0xf// 000000009620: 0B7574FA FF01560C
	v_mul_f32_dpp v187, v12, v187 row_newbcast:7 row_mask:0xf bank_mask:0xf// 000000009628: 0B7776FA FF01570C
	v_mul_f32_e32 v184, v20, v184                              // 000000009630: 0B717114
	v_mul_f32_e32 v185, v20, v185                              // 000000009634: 0B737314
	v_mul_f32_e32 v186, v20, v186                              // 000000009638: 0B757514
	v_mul_f32_e32 v187, v20, v187                              // 00000000963C: 0B777714
	v_mul_f32_e32 v188, v25, v188                              // 000000009640: 0B797919
	v_mul_f32_e32 v189, v25, v189                              // 000000009644: 0B7B7B19
	v_mul_f32_e32 v190, v25, v190                              // 000000009648: 0B7D7D19
	v_mul_f32_e32 v191, v25, v191                              // 00000000964C: 0B7F7F19
	v_mul_f32_dpp v188, v12, v188 row_newbcast:4 row_mask:0xf bank_mask:0xf// 000000009650: 0B7978FA FF01540C
	v_mul_f32_dpp v189, v12, v189 row_newbcast:5 row_mask:0xf bank_mask:0xf// 000000009658: 0B7B7AFA FF01550C
	v_mul_f32_dpp v190, v12, v190 row_newbcast:6 row_mask:0xf bank_mask:0xf// 000000009660: 0B7D7CFA FF01560C
	v_mul_f32_dpp v191, v12, v191 row_newbcast:7 row_mask:0xf bank_mask:0xf// 000000009668: 0B7F7EFA FF01570C
	v_mul_f32_e32 v188, v21, v188                              // 000000009670: 0B797915
	v_mul_f32_e32 v189, v21, v189                              // 000000009674: 0B7B7B15
	v_mul_f32_e32 v190, v21, v190                              // 000000009678: 0B7D7D15
	v_mul_f32_e32 v191, v21, v191                              // 00000000967C: 0B7F7F15
	v_mul_f32_e32 v192, v24, v192                              // 000000009680: 0B818118
	v_mul_f32_e32 v193, v24, v193                              // 000000009684: 0B838318
	v_mul_f32_e32 v194, v24, v194                              // 000000009688: 0B858518
	v_mul_f32_e32 v195, v24, v195                              // 00000000968C: 0B878718
	v_mul_f32_dpp v192, v12, v192 row_newbcast:8 row_mask:0xf bank_mask:0xf// 000000009690: 0B8180FA FF01580C
	v_mul_f32_dpp v193, v12, v193 row_newbcast:9 row_mask:0xf bank_mask:0xf// 000000009698: 0B8382FA FF01590C
	v_mul_f32_dpp v194, v12, v194 row_newbcast:10 row_mask:0xf bank_mask:0xf// 0000000096A0: 0B8584FA FF015A0C
	v_mul_f32_dpp v195, v12, v195 row_newbcast:11 row_mask:0xf bank_mask:0xf// 0000000096A8: 0B8786FA FF015B0C
	v_mul_f32_e32 v192, v20, v192                              // 0000000096B0: 0B818114
	v_mul_f32_e32 v193, v20, v193                              // 0000000096B4: 0B838314
	v_mul_f32_e32 v194, v20, v194                              // 0000000096B8: 0B858514
	v_mul_f32_e32 v195, v20, v195                              // 0000000096BC: 0B878714
	v_mul_f32_e32 v196, v25, v196                              // 0000000096C0: 0B898919
	v_mul_f32_e32 v197, v25, v197                              // 0000000096C4: 0B8B8B19
	v_mul_f32_e32 v198, v25, v198                              // 0000000096C8: 0B8D8D19
	v_mul_f32_e32 v199, v25, v199                              // 0000000096CC: 0B8F8F19
	v_mul_f32_dpp v196, v12, v196 row_newbcast:8 row_mask:0xf bank_mask:0xf// 0000000096D0: 0B8988FA FF01580C
	v_mul_f32_dpp v197, v12, v197 row_newbcast:9 row_mask:0xf bank_mask:0xf// 0000000096D8: 0B8B8AFA FF01590C
	v_mul_f32_dpp v198, v12, v198 row_newbcast:10 row_mask:0xf bank_mask:0xf// 0000000096E0: 0B8D8CFA FF015A0C
	v_mul_f32_dpp v199, v12, v199 row_newbcast:11 row_mask:0xf bank_mask:0xf// 0000000096E8: 0B8F8EFA FF015B0C
	v_mul_f32_e32 v196, v21, v196                              // 0000000096F0: 0B898915
	v_mul_f32_e32 v197, v21, v197                              // 0000000096F4: 0B8B8B15
	v_mul_f32_e32 v198, v21, v198                              // 0000000096F8: 0B8D8D15
	v_mul_f32_e32 v199, v21, v199                              // 0000000096FC: 0B8F8F15
	v_mul_f32_e32 v200, v24, v200                              // 000000009700: 0B919118
	v_mul_f32_e32 v201, v24, v201                              // 000000009704: 0B939318
	v_mul_f32_e32 v202, v24, v202                              // 000000009708: 0B959518
	v_mul_f32_e32 v203, v24, v203                              // 00000000970C: 0B979718
	v_mul_f32_dpp v200, v12, v200 row_newbcast:12 row_mask:0xf bank_mask:0xf// 000000009710: 0B9190FA FF015C0C
	v_mul_f32_dpp v201, v12, v201 row_newbcast:13 row_mask:0xf bank_mask:0xf// 000000009718: 0B9392FA FF015D0C
	v_mul_f32_dpp v202, v12, v202 row_newbcast:14 row_mask:0xf bank_mask:0xf// 000000009720: 0B9594FA FF015E0C
	v_mul_f32_dpp v203, v12, v203 row_newbcast:15 row_mask:0xf bank_mask:0xf// 000000009728: 0B9796FA FF015F0C
	v_mul_f32_e32 v200, v20, v200                              // 000000009730: 0B919114
	v_mul_f32_e32 v201, v20, v201                              // 000000009734: 0B939314
	v_mul_f32_e32 v202, v20, v202                              // 000000009738: 0B959514
	v_mul_f32_e32 v203, v20, v203                              // 00000000973C: 0B979714
	v_mul_f32_e32 v204, v25, v204                              // 000000009740: 0B999919
	v_mul_f32_e32 v205, v25, v205                              // 000000009744: 0B9B9B19
	v_mul_f32_e32 v206, v25, v206                              // 000000009748: 0B9D9D19
	v_mul_f32_e32 v207, v25, v207                              // 00000000974C: 0B9F9F19
	v_mul_f32_dpp v204, v12, v204 row_newbcast:12 row_mask:0xf bank_mask:0xf// 000000009750: 0B9998FA FF015C0C
	v_mul_f32_dpp v205, v12, v205 row_newbcast:13 row_mask:0xf bank_mask:0xf// 000000009758: 0B9B9AFA FF015D0C
	v_mul_f32_dpp v206, v12, v206 row_newbcast:14 row_mask:0xf bank_mask:0xf// 000000009760: 0B9D9CFA FF015E0C
	v_mul_f32_dpp v207, v12, v207 row_newbcast:15 row_mask:0xf bank_mask:0xf// 000000009768: 0B9F9EFA FF015F0C
	v_mul_f32_e32 v204, v21, v204                              // 000000009770: 0B999915
	v_mul_f32_e32 v205, v21, v205                              // 000000009774: 0B9B9B15
	v_mul_f32_e32 v206, v21, v206                              // 000000009778: 0B9D9D15
	v_mul_f32_e32 v207, v21, v207                              // 00000000977C: 0B9F9F15
	v_cvt_pkrtz_f16_f32 v176, v176, v177                       // 000000009780: D29600B0 000363B0
	v_cvt_pkrtz_f16_f32 v177, v178, v179                       // 000000009788: D29600B1 000367B2
	v_cvt_pkrtz_f16_f32 v178, v180, v181                       // 000000009790: D29600B2 00036BB4
	v_cvt_pkrtz_f16_f32 v179, v182, v183                       // 000000009798: D29600B3 00036FB6
	v_cvt_pkrtz_f16_f32 v180, v184, v185                       // 0000000097A0: D29600B4 000373B8
	v_cvt_pkrtz_f16_f32 v181, v186, v187                       // 0000000097A8: D29600B5 000377BA
	v_cvt_pkrtz_f16_f32 v182, v188, v189                       // 0000000097B0: D29600B6 00037BBC
	v_cvt_pkrtz_f16_f32 v183, v190, v191                       // 0000000097B8: D29600B7 00037FBE
	v_cvt_pkrtz_f16_f32 v184, v192, v193                       // 0000000097C0: D29600B8 000383C0
	v_cvt_pkrtz_f16_f32 v185, v194, v195                       // 0000000097C8: D29600B9 000387C2
	v_cvt_pkrtz_f16_f32 v186, v196, v197                       // 0000000097D0: D29600BA 00038BC4
	v_cvt_pkrtz_f16_f32 v187, v198, v199                       // 0000000097D8: D29600BB 00038FC6
	v_cvt_pkrtz_f16_f32 v188, v200, v201                       // 0000000097E0: D29600BC 000393C8
	v_cvt_pkrtz_f16_f32 v189, v202, v203                       // 0000000097E8: D29600BD 000397CA
	v_cvt_pkrtz_f16_f32 v190, v204, v205                       // 0000000097F0: D29600BE 00039BCC
	v_cvt_pkrtz_f16_f32 v191, v206, v207                       // 0000000097F8: D29600BF 00039FCE
	s_cmp_ge_u32 s80, 0x200                                    // 000000009800: BF09FF50 00000200
	s_cselect_b32 s59, 0x200, s59                              // 000000009808: 853B3BFF 00000200
	s_setvskip s20, 0                                          // 000000009810: BF108014
	global_atomic_pk_add_f16 v80, v64, s[8:9]                  // 000000009814: DD388000 00084050
	s_setvskip 0, 0                                            // 00000000981C: BF108080
	s_setvskip s20, 0                                          // 000000009820: BF108014
	global_atomic_pk_add_f16 v80, v65, s[8:9] offset:256       // 000000009824: DD388100 00084150
	s_setvskip 0, 0                                            // 00000000982C: BF108080
	s_setvskip s20, 1                                          // 000000009830: BF108114
	global_atomic_pk_add_f16 v82, v66, s[8:9]                  // 000000009834: DD388000 00084252
	s_setvskip 0, 0                                            // 00000000983C: BF108080
	s_setvskip s20, 1                                          // 000000009840: BF108114
	global_atomic_pk_add_f16 v82, v67, s[8:9] offset:256       // 000000009844: DD388100 00084352
	s_setvskip 0, 0                                            // 00000000984C: BF108080
	s_setvskip s20, 2                                          // 000000009850: BF108214
	global_atomic_pk_add_f16 v84, v68, s[8:9]                  // 000000009854: DD388000 00084454
	s_setvskip 0, 0                                            // 00000000985C: BF108080
	s_setvskip s20, 2                                          // 000000009860: BF108214
	global_atomic_pk_add_f16 v84, v69, s[8:9] offset:256       // 000000009864: DD388100 00084554
	s_setvskip 0, 0                                            // 00000000986C: BF108080
	s_setvskip s20, 3                                          // 000000009870: BF108314
	global_atomic_pk_add_f16 v86, v70, s[8:9]                  // 000000009874: DD388000 00084656
	s_setvskip 0, 0                                            // 00000000987C: BF108080
	s_setvskip s20, 3                                          // 000000009880: BF108314
	global_atomic_pk_add_f16 v86, v71, s[8:9] offset:256       // 000000009884: DD388100 00084756
	s_setvskip 0, 0                                            // 00000000988C: BF108080
	s_setvskip s20, 4                                          // 000000009890: BF108414
	global_atomic_pk_add_f16 v88, v72, s[8:9]                  // 000000009894: DD388000 00084858
	s_setvskip 0, 0                                            // 00000000989C: BF108080
	s_setvskip s20, 4                                          // 0000000098A0: BF108414
	global_atomic_pk_add_f16 v88, v73, s[8:9] offset:256       // 0000000098A4: DD388100 00084958
	s_setvskip 0, 0                                            // 0000000098AC: BF108080
	s_setvskip s20, 5                                          // 0000000098B0: BF108514
	global_atomic_pk_add_f16 v90, v74, s[8:9]                  // 0000000098B4: DD388000 00084A5A
	s_setvskip 0, 0                                            // 0000000098BC: BF108080
	s_setvskip s20, 5                                          // 0000000098C0: BF108514
	global_atomic_pk_add_f16 v90, v75, s[8:9] offset:256       // 0000000098C4: DD388100 00084B5A
	s_setvskip 0, 0                                            // 0000000098CC: BF108080
	s_setvskip s20, 6                                          // 0000000098D0: BF108614
	global_atomic_pk_add_f16 v92, v76, s[8:9]                  // 0000000098D4: DD388000 00084C5C
	s_setvskip 0, 0                                            // 0000000098DC: BF108080
	s_setvskip s20, 6                                          // 0000000098E0: BF108614
	global_atomic_pk_add_f16 v92, v77, s[8:9] offset:256       // 0000000098E4: DD388100 00084D5C
	s_setvskip 0, 0                                            // 0000000098EC: BF108080
	s_setvskip s20, 7                                          // 0000000098F0: BF108714
	global_atomic_pk_add_f16 v94, v78, s[8:9]                  // 0000000098F4: DD388000 00084E5E
	s_setvskip 0, 0                                            // 0000000098FC: BF108080
	s_setvskip s20, 7                                          // 000000009900: BF108714
	global_atomic_pk_add_f16 v94, v79, s[8:9] offset:256       // 000000009904: DD388100 00084F5E
	s_setvskip 0, 0                                            // 00000000990C: BF108080
	s_add_u32 s8, s59, s8                                      // 000000009910: 8008083B
	s_addc_u32 s9, 0, s9                                       // 000000009914: 82090980
	s_addk_i32 s80, 0x100                                      // 000000009918: B7500100
	s_cmp_lt_i32 s80, s81                                      // 00000000991C: BF045150
	s_cbranch_scc0 label_0FAF                                  // 000000009920: BF84F4E6
	s_waitcnt vmcnt(21) lgkmcnt(0)                             // 000000009924: BF8C4075
	s_barrier                                                  // 000000009928: BF8A0000
	v_mfma_f32_16x16x32_fp8_fp8 v[208:211], a[96:97], v[128:129], 0// 00000000992C: D3F300D0 0A030160
	buffer_load_dwordx4 a[0:3], v40, s[12:15], 0 offen         // 000000009934: E05C1000 80830028
	v_mfma_f32_16x16x32_fp8_fp8 v[208:211], a[98:99], v[130:131], v[208:211]// 00000000993C: D3F300D0 0F430562
	ds_read_b32 v64, v4 offset:36096                           // 000000009944: D86C8D00 40000004
	ds_read_b32 v65, v4 offset:40448                           // 00000000994C: D86C9E00 41000004
	v_mfma_f32_16x16x32_fp8_fp8 v[212:215], a[96:97], v[152:153], 0// 000000009954: D3F300D4 0A033160
	v_mfma_f32_16x16x32_fp8_fp8 v[212:215], a[98:99], v[154:155], v[212:215]// 00000000995C: D3F300D4 0F533562
	ds_read_b32 v66, v4 offset:36128                           // 000000009964: D86C8D20 42000004
	ds_read_b32 v67, v4 offset:40480                           // 00000000996C: D86C9E20 43000004
	v_mfma_f32_16x16x32_fp8_fp8 v[216:219], a[100:101], v[128:129], 0// 000000009974: D3F300D8 0A030164
	buffer_load_dwordx4 a[4:7], v41, s[12:15], 0 offen         // 00000000997C: E05C1000 80830429
	v_mfma_f32_16x16x32_fp8_fp8 v[216:219], a[102:103], v[130:131], v[216:219]// 000000009984: D3F300D8 0F630566
	ds_read_b32 v68, v4 offset:36160                           // 00000000998C: D86C8D40 44000004
	ds_read_b32 v69, v4 offset:40512                           // 000000009994: D86C9E40 45000004
	v_mfma_f32_16x16x32_fp8_fp8 v[220:223], a[100:101], v[152:153], 0// 00000000999C: D3F300DC 0A033164
	v_mfma_f32_16x16x32_fp8_fp8 v[220:223], a[102:103], v[154:155], v[220:223]// 0000000099A4: D3F300DC 0F733566
	ds_read_b32 v70, v4 offset:36192                           // 0000000099AC: D86C8D60 46000004
	ds_read_b32 v71, v4 offset:40544                           // 0000000099B4: D86C9E60 47000004
	v_mfma_f32_16x16x32_fp8_fp8 v[224:227], a[104:105], v[128:129], 0// 0000000099BC: D3F300E0 0A030168
	buffer_load_dwordx4 a[8:11], v42, s[12:15], 0 offen        // 0000000099C4: E05C1000 8083082A
	v_mfma_f32_16x16x32_fp8_fp8 v[224:227], a[106:107], v[130:131], v[224:227]// 0000000099CC: D3F300E0 0F83056A
	ds_read_b32 v72, v4 offset:44800                           // 0000000099D4: D86CAF00 48000004
	ds_read_b32 v73, v4 offset:49152                           // 0000000099DC: D86CC000 49000004
	v_mfma_f32_16x16x32_fp8_fp8 v[228:231], a[104:105], v[152:153], 0// 0000000099E4: D3F300E4 0A033168
	v_mfma_f32_16x16x32_fp8_fp8 v[228:231], a[106:107], v[154:155], v[228:231]// 0000000099EC: D3F300E4 0F93356A
	ds_read_b32 v74, v4 offset:44832                           // 0000000099F4: D86CAF20 4A000004
	ds_read_b32 v75, v4 offset:49184                           // 0000000099FC: D86CC020 4B000004
	v_mfma_f32_16x16x32_fp8_fp8 v[232:235], a[108:109], v[128:129], 0// 000000009A04: D3F300E8 0A03016C
	buffer_load_dwordx4 a[12:15], v43, s[12:15], 0 offen       // 000000009A0C: E05C1000 80830C2B
	s_add_u32 s12, s78, s12                                    // 000000009A14: 800C0C4E
	s_addc_u32 s13, 0, s13                                     // 000000009A18: 820D0D80
	v_mfma_f32_16x16x32_fp8_fp8 v[232:235], a[110:111], v[130:131], v[232:235]// 000000009A1C: D3F300E8 0FA3056E
	ds_read_b32 v76, v4 offset:44864                           // 000000009A24: D86CAF40 4C000004
	ds_read_b32 v77, v4 offset:49216                           // 000000009A2C: D86CC040 4D000004
	v_mfma_f32_16x16x32_fp8_fp8 v[236:239], a[108:109], v[152:153], 0// 000000009A34: D3F300EC 0A03316C
	v_mfma_f32_16x16x32_fp8_fp8 v[236:239], a[110:111], v[154:155], v[236:239]// 000000009A3C: D3F300EC 0FB3356E
	ds_read_b32 v78, v4 offset:44896                           // 000000009A44: D86CAF60 4E000004
	ds_read_b32 v79, v4 offset:49248                           // 000000009A4C: D86CC060 4F000004
	s_waitcnt vmcnt(21)                                        // 000000009A54: BF8C4F75
	v_mfma_f32_16x16x32_fp8_fp8 v[208:211], a[112:113], v[132:133], v[208:211]// 000000009A58: D3F300D0 0F430970
	buffer_load_dwordx4 a[16:19], v40, s[12:15], 0 offen       // 000000009A60: E05C1000 80831028
	v_mfma_f32_16x16x32_fp8_fp8 v[208:211], a[114:115], v[134:135], v[208:211]// 000000009A68: D3F300D0 0F430D72
	v_mfma_f32_16x16x32_fp8_fp8 v[212:215], a[112:113], v[156:157], v[212:215]// 000000009A70: D3F300D4 0F533970
	v_mfma_f32_16x16x32_fp8_fp8 v[212:215], a[114:115], v[158:159], v[212:215]// 000000009A78: D3F300D4 0F533D72
	v_mfma_f32_16x16x32_fp8_fp8 v[216:219], a[116:117], v[132:133], v[216:219]// 000000009A80: D3F300D8 0F630974
	buffer_load_dwordx4 a[20:23], v41, s[12:15], 0 offen       // 000000009A88: E05C1000 80831429
	v_mfma_f32_16x16x32_fp8_fp8 v[216:219], a[118:119], v[134:135], v[216:219]// 000000009A90: D3F300D8 0F630D76
	v_mfma_f32_16x16x32_fp8_fp8 v[220:223], a[116:117], v[156:157], v[220:223]// 000000009A98: D3F300DC 0F733974
	v_mfma_f32_16x16x32_fp8_fp8 v[220:223], a[118:119], v[158:159], v[220:223]// 000000009AA0: D3F300DC 0F733D76
	v_mfma_f32_16x16x32_fp8_fp8 v[224:227], a[120:121], v[132:133], v[224:227]// 000000009AA8: D3F300E0 0F830978
	buffer_load_dwordx4 a[24:27], v42, s[12:15], 0 offen       // 000000009AB0: E05C1000 8083182A
	v_mfma_f32_16x16x32_fp8_fp8 v[224:227], a[122:123], v[134:135], v[224:227]// 000000009AB8: D3F300E0 0F830D7A
	v_mfma_f32_16x16x32_fp8_fp8 v[228:231], a[120:121], v[156:157], v[228:231]// 000000009AC0: D3F300E4 0F933978
	v_mfma_f32_16x16x32_fp8_fp8 v[228:231], a[122:123], v[158:159], v[228:231]// 000000009AC8: D3F300E4 0F933D7A
	v_mfma_f32_16x16x32_fp8_fp8 v[232:235], a[124:125], v[132:133], v[232:235]// 000000009AD0: D3F300E8 0FA3097C
	buffer_load_dwordx4 a[28:31], v43, s[12:15], 0 offen       // 000000009AD8: E05C1000 80831C2B
	s_add_u32 s12, s78, s12                                    // 000000009AE0: 800C0C4E
	s_addc_u32 s13, 0, s13                                     // 000000009AE4: 820D0D80
	v_mfma_f32_16x16x32_fp8_fp8 v[232:235], a[126:127], v[134:135], v[232:235]// 000000009AE8: D3F300E8 0FA30D7E
	v_mfma_f32_16x16x32_fp8_fp8 v[236:239], a[124:125], v[156:157], v[236:239]// 000000009AF0: D3F300EC 0FB3397C
	v_mfma_f32_16x16x32_fp8_fp8 v[236:239], a[126:127], v[158:159], v[236:239]// 000000009AF8: D3F300EC 0FB33D7E
	s_waitcnt vmcnt(21)                                        // 000000009B00: BF8C4F75
	v_mfma_f32_16x16x32_fp8_fp8 v[208:211], a[128:129], v[136:137], v[208:211]// 000000009B04: D3F300D0 0F431180
	buffer_load_dwordx4 a[32:35], v40, s[12:15], 0 offen       // 000000009B0C: E05C1000 80832028
	v_mfma_f32_16x16x32_fp8_fp8 v[208:211], a[130:131], v[138:139], v[208:211]// 000000009B14: D3F300D0 0F431582
	ds_write_b64 v3, v[176:177] offset:18688                   // 000000009B1C: D89A4900 0000B003
	v_mfma_f32_16x16x32_fp8_fp8 v[212:215], a[128:129], v[160:161], v[212:215]// 000000009B24: D3F300D4 0F534180
	v_mfma_f32_16x16x32_fp8_fp8 v[212:215], a[130:131], v[162:163], v[212:215]// 000000009B2C: D3F300D4 0F534582
	ds_write_b64 v3, v[178:179] offset:27392                   // 000000009B34: D89A6B00 0000B203
	v_mfma_f32_16x16x32_fp8_fp8 v[216:219], a[132:133], v[136:137], v[216:219]// 000000009B3C: D3F300D8 0F631184
	buffer_load_dwordx4 a[36:39], v41, s[12:15], 0 offen       // 000000009B44: E05C1000 80832429
	v_mfma_f32_16x16x32_fp8_fp8 v[216:219], a[134:135], v[138:139], v[216:219]// 000000009B4C: D3F300D8 0F631586
	ds_write_b64 v3, v[180:181] offset:20864                   // 000000009B54: D89A5180 0000B403
	v_mfma_f32_16x16x32_fp8_fp8 v[220:223], a[132:133], v[160:161], v[220:223]// 000000009B5C: D3F300DC 0F734184
	v_mfma_f32_16x16x32_fp8_fp8 v[220:223], a[134:135], v[162:163], v[220:223]// 000000009B64: D3F300DC 0F734586
	ds_write_b64 v3, v[182:183] offset:29568                   // 000000009B6C: D89A7380 0000B603
	v_mfma_f32_16x16x32_fp8_fp8 v[224:227], a[136:137], v[136:137], v[224:227]// 000000009B74: D3F300E0 0F831188
	buffer_load_dwordx4 a[40:43], v42, s[12:15], 0 offen       // 000000009B7C: E05C1000 8083282A
	v_mfma_f32_16x16x32_fp8_fp8 v[224:227], a[138:139], v[138:139], v[224:227]// 000000009B84: D3F300E0 0F83158A
	ds_write_b64 v3, v[184:185] offset:23040                   // 000000009B8C: D89A5A00 0000B803
	v_mfma_f32_16x16x32_fp8_fp8 v[228:231], a[136:137], v[160:161], v[228:231]// 000000009B94: D3F300E4 0F934188
	v_mfma_f32_16x16x32_fp8_fp8 v[228:231], a[138:139], v[162:163], v[228:231]// 000000009B9C: D3F300E4 0F93458A
	ds_write_b64 v3, v[186:187] offset:31744                   // 000000009BA4: D89A7C00 0000BA03
	v_mfma_f32_16x16x32_fp8_fp8 v[232:235], a[140:141], v[136:137], v[232:235]// 000000009BAC: D3F300E8 0FA3118C
	buffer_load_dwordx4 a[44:47], v43, s[12:15], 0 offen       // 000000009BB4: E05C1000 80832C2B
	s_add_u32 s12, s78, s12                                    // 000000009BBC: 800C0C4E
	s_addc_u32 s13, 0, s13                                     // 000000009BC0: 820D0D80
	v_mfma_f32_16x16x32_fp8_fp8 v[232:235], a[142:143], v[138:139], v[232:235]// 000000009BC4: D3F300E8 0FA3158E
	ds_write_b64 v3, v[188:189] offset:25216                   // 000000009BCC: D89A6280 0000BC03
	v_mfma_f32_16x16x32_fp8_fp8 v[236:239], a[140:141], v[160:161], v[236:239]// 000000009BD4: D3F300EC 0FB3418C
	v_mfma_f32_16x16x32_fp8_fp8 v[236:239], a[142:143], v[162:163], v[236:239]// 000000009BDC: D3F300EC 0FB3458E
	ds_write_b64 v3, v[190:191] offset:33920                   // 000000009BE4: D89A8480 0000BE03
	s_waitcnt vmcnt(21)                                        // 000000009BEC: BF8C4F75
	v_mfma_f32_16x16x32_fp8_fp8 v[208:211], a[144:145], v[140:141], v[208:211]// 000000009BF0: D3F300D0 0F431990
	buffer_load_dwordx4 a[48:51], v40, s[12:15], 0 offen       // 000000009BF8: E05C1000 80833028
	v_mfma_f32_16x16x32_fp8_fp8 v[208:211], a[146:147], v[142:143], v[208:211]// 000000009C00: D3F300D0 0F431D92
	v_mfma_f32_16x16x32_fp8_fp8 v[212:215], a[144:145], v[164:165], v[212:215]// 000000009C08: D3F300D4 0F534990
	v_mfma_f32_16x16x32_fp8_fp8 v[212:215], a[146:147], v[166:167], v[212:215]// 000000009C10: D3F300D4 0F534D92
	v_mfma_f32_16x16x32_fp8_fp8 v[216:219], a[148:149], v[140:141], v[216:219]// 000000009C18: D3F300D8 0F631994
	buffer_load_dwordx4 a[52:55], v41, s[12:15], 0 offen       // 000000009C20: E05C1000 80833429
	v_mfma_f32_16x16x32_fp8_fp8 v[216:219], a[150:151], v[142:143], v[216:219]// 000000009C28: D3F300D8 0F631D96
	v_mfma_f32_16x16x32_fp8_fp8 v[220:223], a[148:149], v[164:165], v[220:223]// 000000009C30: D3F300DC 0F734994
	v_mfma_f32_16x16x32_fp8_fp8 v[220:223], a[150:151], v[166:167], v[220:223]// 000000009C38: D3F300DC 0F734D96
	v_mfma_f32_16x16x32_fp8_fp8 v[224:227], a[152:153], v[140:141], v[224:227]// 000000009C40: D3F300E0 0F831998
	buffer_load_dwordx4 a[56:59], v42, s[12:15], 0 offen       // 000000009C48: E05C1000 8083382A
	v_mfma_f32_16x16x32_fp8_fp8 v[224:227], a[154:155], v[142:143], v[224:227]// 000000009C50: D3F300E0 0F831D9A
	v_mfma_f32_16x16x32_fp8_fp8 v[228:231], a[152:153], v[164:165], v[228:231]// 000000009C58: D3F300E4 0F934998
	v_mfma_f32_16x16x32_fp8_fp8 v[228:231], a[154:155], v[166:167], v[228:231]// 000000009C60: D3F300E4 0F934D9A
	v_mfma_f32_16x16x32_fp8_fp8 v[232:235], a[156:157], v[140:141], v[232:235]// 000000009C68: D3F300E8 0FA3199C
	buffer_load_dwordx4 a[60:63], v43, s[12:15], 0 offen       // 000000009C70: E05C1000 80833C2B
	s_add_u32 s12, s78, s12                                    // 000000009C78: 800C0C4E
	s_addc_u32 s13, 0, s13                                     // 000000009C7C: 820D0D80
	v_mfma_f32_16x16x32_fp8_fp8 v[232:235], a[158:159], v[142:143], v[232:235]// 000000009C80: D3F300E8 0FA31D9E
	v_mfma_f32_16x16x32_fp8_fp8 v[236:239], a[156:157], v[164:165], v[236:239]// 000000009C88: D3F300EC 0FB3499C
	v_mfma_f32_16x16x32_fp8_fp8 v[236:239], a[158:159], v[166:167], v[236:239]// 000000009C90: D3F300EC 0FB34D9E
	s_waitcnt vmcnt(21)                                        // 000000009C98: BF8C4F75
	v_mfma_f32_16x16x32_fp8_fp8 v[208:211], a[160:161], v[144:145], v[208:211]// 000000009C9C: D3F300D0 0F4321A0
	buffer_load_dwordx4 a[64:67], v40, s[12:15], 0 offen       // 000000009CA4: E05C1000 80834028
	v_mfma_f32_16x16x32_fp8_fp8 v[208:211], a[162:163], v[146:147], v[208:211]// 000000009CAC: D3F300D0 0F4325A2
	v_mfma_f32_16x16x32_fp8_fp8 v[212:215], a[160:161], v[168:169], v[212:215]// 000000009CB4: D3F300D4 0F5351A0
	v_mfma_f32_16x16x32_fp8_fp8 v[212:215], a[162:163], v[170:171], v[212:215]// 000000009CBC: D3F300D4 0F5355A2
	v_mfma_f32_16x16x32_fp8_fp8 v[216:219], a[164:165], v[144:145], v[216:219]// 000000009CC4: D3F300D8 0F6321A4
	buffer_load_dwordx4 a[68:71], v41, s[12:15], 0 offen       // 000000009CCC: E05C1000 80834429
	v_mfma_f32_16x16x32_fp8_fp8 v[216:219], a[166:167], v[146:147], v[216:219]// 000000009CD4: D3F300D8 0F6325A6
	v_mfma_f32_16x16x32_fp8_fp8 v[220:223], a[164:165], v[168:169], v[220:223]// 000000009CDC: D3F300DC 0F7351A4
	v_mfma_f32_16x16x32_fp8_fp8 v[220:223], a[166:167], v[170:171], v[220:223]// 000000009CE4: D3F300DC 0F7355A6
	v_mfma_f32_16x16x32_fp8_fp8 v[224:227], a[168:169], v[144:145], v[224:227]// 000000009CEC: D3F300E0 0F8321A8
	buffer_load_dwordx4 a[72:75], v42, s[12:15], 0 offen       // 000000009CF4: E05C1000 8083482A
	v_mfma_f32_16x16x32_fp8_fp8 v[224:227], a[170:171], v[146:147], v[224:227]// 000000009CFC: D3F300E0 0F8325AA
	v_mfma_f32_16x16x32_fp8_fp8 v[228:231], a[168:169], v[168:169], v[228:231]// 000000009D04: D3F300E4 0F9351A8
	v_mfma_f32_16x16x32_fp8_fp8 v[228:231], a[170:171], v[170:171], v[228:231]// 000000009D0C: D3F300E4 0F9355AA
	v_mfma_f32_16x16x32_fp8_fp8 v[232:235], a[172:173], v[144:145], v[232:235]// 000000009D14: D3F300E8 0FA321AC
	buffer_load_dwordx4 a[76:79], v43, s[12:15], 0 offen       // 000000009D1C: E05C1000 80834C2B
	s_add_u32 s12, s78, s12                                    // 000000009D24: 800C0C4E
	s_addc_u32 s13, 0, s13                                     // 000000009D28: 820D0D80
	v_mfma_f32_16x16x32_fp8_fp8 v[232:235], a[174:175], v[146:147], v[232:235]// 000000009D2C: D3F300E8 0FA325AE
	v_mfma_f32_16x16x32_fp8_fp8 v[236:239], a[172:173], v[168:169], v[236:239]// 000000009D34: D3F300EC 0FB351AC
	v_mfma_f32_16x16x32_fp8_fp8 v[236:239], a[174:175], v[170:171], v[236:239]// 000000009D3C: D3F300EC 0FB355AE
	s_waitcnt vmcnt(20)                                        // 000000009D44: BF8C4F74
	v_mfma_f32_16x16x32_fp8_fp8 v[208:211], a[176:177], v[148:149], v[208:211]// 000000009D48: D3F300D0 0F4329B0
	buffer_load_dwordx4 a[80:83], v40, s[12:15], 0 offen       // 000000009D50: E05C1000 80835028
	v_mfma_f32_16x16x32_fp8_fp8 v[208:211], a[178:179], v[150:151], v[208:211]// 000000009D58: D3F300D0 0F432DB2
	v_mfma_f32_16x16x32_fp8_fp8 v[212:215], a[176:177], v[172:173], v[212:215]// 000000009D60: D3F300D4 0F5359B0
	buffer_load_dword v12, v5, s[16:19], 0 offen               // 000000009D68: E0501000 80040C05
	v_mfma_f32_16x16x32_fp8_fp8 v[212:215], a[178:179], v[174:175], v[212:215]// 000000009D70: D3F300D4 0F535DB2
	v_mfma_f32_16x16x32_fp8_fp8 v[216:219], a[180:181], v[148:149], v[216:219]// 000000009D78: D3F300D8 0F6329B4
	buffer_load_dwordx4 a[84:87], v41, s[12:15], 0 offen       // 000000009D80: E05C1000 80835429
	v_mfma_f32_16x16x32_fp8_fp8 v[216:219], a[182:183], v[150:151], v[216:219]// 000000009D88: D3F300D8 0F632DB6
	v_mfma_f32_16x16x32_fp8_fp8 v[220:223], a[180:181], v[172:173], v[220:223]// 000000009D90: D3F300DC 0F7359B4
	v_mfma_f32_16x16x32_fp8_fp8 v[220:223], a[182:183], v[174:175], v[220:223]// 000000009D98: D3F300DC 0F735DB6
	v_mfma_f32_16x16x32_fp8_fp8 v[224:227], a[184:185], v[148:149], v[224:227]// 000000009DA0: D3F300E0 0F8329B8
	buffer_load_dwordx4 a[88:91], v42, s[12:15], 0 offen       // 000000009DA8: E05C1000 8083582A
	v_mfma_f32_16x16x32_fp8_fp8 v[224:227], a[186:187], v[150:151], v[224:227]// 000000009DB0: D3F300E0 0F832DBA
	v_mfma_f32_16x16x32_fp8_fp8 v[228:231], a[184:185], v[172:173], v[228:231]// 000000009DB8: D3F300E4 0F9359B8
	v_mfma_f32_16x16x32_fp8_fp8 v[228:231], a[186:187], v[174:175], v[228:231]// 000000009DC0: D3F300E4 0F935DBA
	v_mfma_f32_16x16x32_fp8_fp8 v[232:235], a[188:189], v[148:149], v[232:235]// 000000009DC8: D3F300E8 0FA329BC
	buffer_load_dwordx4 a[92:95], v43, s[12:15], 0 offen       // 000000009DD0: E05C1000 80835C2B
	v_mfma_f32_16x16x32_fp8_fp8 v[232:235], a[190:191], v[150:151], v[232:235]// 000000009DD8: D3F300E8 0FA32DBE
	v_mfma_f32_16x16x32_fp8_fp8 v[236:239], a[188:189], v[172:173], v[236:239]// 000000009DE0: D3F300EC 0FB359BC
	v_mfma_f32_16x16x32_fp8_fp8 v[236:239], a[190:191], v[174:175], v[236:239]// 000000009DE8: D3F300EC 0FB35DBE
	s_add_u32 s60, 0x200, s80                                  // 000000009DF0: 803C50FF 00000200
	s_cmp_lt_u32 s60, s81                                      // 000000009DF8: BF0A513C
	s_cselect_b32 s56, s56, 0                                  // 000000009DFC: 85388038
	s_cselect_b32 s78, s78, 0                                  // 000000009E00: 854E804E
	s_cselect_b32 s79, s79, 0                                  // 000000009E04: 854F804F
	s_add_u32 s12, s56, s12                                    // 000000009E08: 800C0C38
	s_addc_u32 s13, 0, s13                                     // 000000009E0C: 820D0D80
	s_add_u32 s16, s79, s16                                    // 000000009E10: 8010104F
	s_addc_u32 s17, 0, s17                                     // 000000009E14: 82111180
	v_mul_f32_e32 v208, v24, v208                              // 000000009E18: 0BA1A118
	v_mul_f32_e32 v209, v24, v209                              // 000000009E1C: 0BA3A318
	v_mul_f32_e32 v210, v24, v210                              // 000000009E20: 0BA5A518
	v_mul_f32_e32 v211, v24, v211                              // 000000009E24: 0BA7A718
	v_mul_f32_dpp v208, v13, v208 row_newbcast:0 row_mask:0xf bank_mask:0xf// 000000009E28: 0BA1A0FA FF01500D
	v_mul_f32_dpp v209, v13, v209 row_newbcast:1 row_mask:0xf bank_mask:0xf// 000000009E30: 0BA3A2FA FF01510D
	v_mul_f32_dpp v210, v13, v210 row_newbcast:2 row_mask:0xf bank_mask:0xf// 000000009E38: 0BA5A4FA FF01520D
	v_mul_f32_dpp v211, v13, v211 row_newbcast:3 row_mask:0xf bank_mask:0xf// 000000009E40: 0BA7A6FA FF01530D
	v_mul_f32_e32 v208, v20, v208                              // 000000009E48: 0BA1A114
	v_mul_f32_e32 v209, v20, v209                              // 000000009E4C: 0BA3A314
	v_mul_f32_e32 v210, v20, v210                              // 000000009E50: 0BA5A514
	v_mul_f32_e32 v211, v20, v211                              // 000000009E54: 0BA7A714
	v_mul_f32_e32 v212, v25, v212                              // 000000009E58: 0BA9A919
	v_mul_f32_e32 v213, v25, v213                              // 000000009E5C: 0BABAB19
	v_mul_f32_e32 v214, v25, v214                              // 000000009E60: 0BADAD19
	v_mul_f32_e32 v215, v25, v215                              // 000000009E64: 0BAFAF19
	v_mul_f32_dpp v212, v13, v212 row_newbcast:0 row_mask:0xf bank_mask:0xf// 000000009E68: 0BA9A8FA FF01500D
	v_mul_f32_dpp v213, v13, v213 row_newbcast:1 row_mask:0xf bank_mask:0xf// 000000009E70: 0BABAAFA FF01510D
	v_mul_f32_dpp v214, v13, v214 row_newbcast:2 row_mask:0xf bank_mask:0xf// 000000009E78: 0BADACFA FF01520D
	v_mul_f32_dpp v215, v13, v215 row_newbcast:3 row_mask:0xf bank_mask:0xf// 000000009E80: 0BAFAEFA FF01530D
	v_mul_f32_e32 v212, v21, v212                              // 000000009E88: 0BA9A915
	v_mul_f32_e32 v213, v21, v213                              // 000000009E8C: 0BABAB15
	v_mul_f32_e32 v214, v21, v214                              // 000000009E90: 0BADAD15
	v_mul_f32_e32 v215, v21, v215                              // 000000009E94: 0BAFAF15
	v_mul_f32_e32 v216, v24, v216                              // 000000009E98: 0BB1B118
	v_mul_f32_e32 v217, v24, v217                              // 000000009E9C: 0BB3B318
	v_mul_f32_e32 v218, v24, v218                              // 000000009EA0: 0BB5B518
	v_mul_f32_e32 v219, v24, v219                              // 000000009EA4: 0BB7B718
	v_mul_f32_dpp v216, v13, v216 row_newbcast:4 row_mask:0xf bank_mask:0xf// 000000009EA8: 0BB1B0FA FF01540D
	v_mul_f32_dpp v217, v13, v217 row_newbcast:5 row_mask:0xf bank_mask:0xf// 000000009EB0: 0BB3B2FA FF01550D
	v_mul_f32_dpp v218, v13, v218 row_newbcast:6 row_mask:0xf bank_mask:0xf// 000000009EB8: 0BB5B4FA FF01560D
	v_mul_f32_dpp v219, v13, v219 row_newbcast:7 row_mask:0xf bank_mask:0xf// 000000009EC0: 0BB7B6FA FF01570D
	v_mul_f32_e32 v216, v20, v216                              // 000000009EC8: 0BB1B114
	v_mul_f32_e32 v217, v20, v217                              // 000000009ECC: 0BB3B314
	v_mul_f32_e32 v218, v20, v218                              // 000000009ED0: 0BB5B514
	v_mul_f32_e32 v219, v20, v219                              // 000000009ED4: 0BB7B714
	v_mul_f32_e32 v220, v25, v220                              // 000000009ED8: 0BB9B919
	v_mul_f32_e32 v221, v25, v221                              // 000000009EDC: 0BBBBB19
	v_mul_f32_e32 v222, v25, v222                              // 000000009EE0: 0BBDBD19
	v_mul_f32_e32 v223, v25, v223                              // 000000009EE4: 0BBFBF19
	v_mul_f32_dpp v220, v13, v220 row_newbcast:4 row_mask:0xf bank_mask:0xf// 000000009EE8: 0BB9B8FA FF01540D
	v_mul_f32_dpp v221, v13, v221 row_newbcast:5 row_mask:0xf bank_mask:0xf// 000000009EF0: 0BBBBAFA FF01550D
	v_mul_f32_dpp v222, v13, v222 row_newbcast:6 row_mask:0xf bank_mask:0xf// 000000009EF8: 0BBDBCFA FF01560D
	v_mul_f32_dpp v223, v13, v223 row_newbcast:7 row_mask:0xf bank_mask:0xf// 000000009F00: 0BBFBEFA FF01570D
	v_mul_f32_e32 v220, v21, v220                              // 000000009F08: 0BB9B915
	v_mul_f32_e32 v221, v21, v221                              // 000000009F0C: 0BBBBB15
	v_mul_f32_e32 v222, v21, v222                              // 000000009F10: 0BBDBD15
	v_mul_f32_e32 v223, v21, v223                              // 000000009F14: 0BBFBF15
	v_mul_f32_e32 v224, v24, v224                              // 000000009F18: 0BC1C118
	v_mul_f32_e32 v225, v24, v225                              // 000000009F1C: 0BC3C318
	v_mul_f32_e32 v226, v24, v226                              // 000000009F20: 0BC5C518
	v_mul_f32_e32 v227, v24, v227                              // 000000009F24: 0BC7C718
	v_mul_f32_dpp v224, v13, v224 row_newbcast:8 row_mask:0xf bank_mask:0xf// 000000009F28: 0BC1C0FA FF01580D
	v_mul_f32_dpp v225, v13, v225 row_newbcast:9 row_mask:0xf bank_mask:0xf// 000000009F30: 0BC3C2FA FF01590D
	v_mul_f32_dpp v226, v13, v226 row_newbcast:10 row_mask:0xf bank_mask:0xf// 000000009F38: 0BC5C4FA FF015A0D
	v_mul_f32_dpp v227, v13, v227 row_newbcast:11 row_mask:0xf bank_mask:0xf// 000000009F40: 0BC7C6FA FF015B0D
	v_mul_f32_e32 v224, v20, v224                              // 000000009F48: 0BC1C114
	v_mul_f32_e32 v225, v20, v225                              // 000000009F4C: 0BC3C314
	v_mul_f32_e32 v226, v20, v226                              // 000000009F50: 0BC5C514
	v_mul_f32_e32 v227, v20, v227                              // 000000009F54: 0BC7C714
	v_mul_f32_e32 v228, v25, v228                              // 000000009F58: 0BC9C919
	v_mul_f32_e32 v229, v25, v229                              // 000000009F5C: 0BCBCB19
	v_mul_f32_e32 v230, v25, v230                              // 000000009F60: 0BCDCD19
	v_mul_f32_e32 v231, v25, v231                              // 000000009F64: 0BCFCF19
	v_mul_f32_dpp v228, v13, v228 row_newbcast:8 row_mask:0xf bank_mask:0xf// 000000009F68: 0BC9C8FA FF01580D
	v_mul_f32_dpp v229, v13, v229 row_newbcast:9 row_mask:0xf bank_mask:0xf// 000000009F70: 0BCBCAFA FF01590D
	v_mul_f32_dpp v230, v13, v230 row_newbcast:10 row_mask:0xf bank_mask:0xf// 000000009F78: 0BCDCCFA FF015A0D
	v_mul_f32_dpp v231, v13, v231 row_newbcast:11 row_mask:0xf bank_mask:0xf// 000000009F80: 0BCFCEFA FF015B0D
	v_mul_f32_e32 v228, v21, v228                              // 000000009F88: 0BC9C915
	v_mul_f32_e32 v229, v21, v229                              // 000000009F8C: 0BCBCB15
	v_mul_f32_e32 v230, v21, v230                              // 000000009F90: 0BCDCD15
	v_mul_f32_e32 v231, v21, v231                              // 000000009F94: 0BCFCF15
	v_mul_f32_e32 v232, v24, v232                              // 000000009F98: 0BD1D118
	v_mul_f32_e32 v233, v24, v233                              // 000000009F9C: 0BD3D318
	v_mul_f32_e32 v234, v24, v234                              // 000000009FA0: 0BD5D518
	v_mul_f32_e32 v235, v24, v235                              // 000000009FA4: 0BD7D718
	v_mul_f32_dpp v232, v13, v232 row_newbcast:12 row_mask:0xf bank_mask:0xf// 000000009FA8: 0BD1D0FA FF015C0D
	v_mul_f32_dpp v233, v13, v233 row_newbcast:13 row_mask:0xf bank_mask:0xf// 000000009FB0: 0BD3D2FA FF015D0D
	v_mul_f32_dpp v234, v13, v234 row_newbcast:14 row_mask:0xf bank_mask:0xf// 000000009FB8: 0BD5D4FA FF015E0D
	v_mul_f32_dpp v235, v13, v235 row_newbcast:15 row_mask:0xf bank_mask:0xf// 000000009FC0: 0BD7D6FA FF015F0D
	v_mul_f32_e32 v232, v20, v232                              // 000000009FC8: 0BD1D114
	v_mul_f32_e32 v233, v20, v233                              // 000000009FCC: 0BD3D314
	v_mul_f32_e32 v234, v20, v234                              // 000000009FD0: 0BD5D514
	v_mul_f32_e32 v235, v20, v235                              // 000000009FD4: 0BD7D714
	v_mul_f32_e32 v236, v25, v236                              // 000000009FD8: 0BD9D919
	v_mul_f32_e32 v237, v25, v237                              // 000000009FDC: 0BDBDB19
	v_mul_f32_e32 v238, v25, v238                              // 000000009FE0: 0BDDDD19
	v_mul_f32_e32 v239, v25, v239                              // 000000009FE4: 0BDFDF19
	v_mul_f32_dpp v236, v13, v236 row_newbcast:12 row_mask:0xf bank_mask:0xf// 000000009FE8: 0BD9D8FA FF015C0D
	v_mul_f32_dpp v237, v13, v237 row_newbcast:13 row_mask:0xf bank_mask:0xf// 000000009FF0: 0BDBDAFA FF015D0D
	v_mul_f32_dpp v238, v13, v238 row_newbcast:14 row_mask:0xf bank_mask:0xf// 000000009FF8: 0BDDDCFA FF015E0D
	v_mul_f32_dpp v239, v13, v239 row_newbcast:15 row_mask:0xf bank_mask:0xf// 00000000A000: 0BDFDEFA FF015F0D
	v_mul_f32_e32 v236, v21, v236                              // 00000000A008: 0BD9D915
	v_mul_f32_e32 v237, v21, v237                              // 00000000A00C: 0BDBDB15
	v_mul_f32_e32 v238, v21, v238                              // 00000000A010: 0BDDDD15
	v_mul_f32_e32 v239, v21, v239                              // 00000000A014: 0BDFDF15
	v_cvt_pkrtz_f16_f32 v208, v208, v209                       // 00000000A018: D29600D0 0003A3D0
	v_cvt_pkrtz_f16_f32 v209, v210, v211                       // 00000000A020: D29600D1 0003A7D2
	v_cvt_pkrtz_f16_f32 v210, v212, v213                       // 00000000A028: D29600D2 0003ABD4
	v_cvt_pkrtz_f16_f32 v211, v214, v215                       // 00000000A030: D29600D3 0003AFD6
	v_cvt_pkrtz_f16_f32 v212, v216, v217                       // 00000000A038: D29600D4 0003B3D8
	v_cvt_pkrtz_f16_f32 v213, v218, v219                       // 00000000A040: D29600D5 0003B7DA
	v_cvt_pkrtz_f16_f32 v214, v220, v221                       // 00000000A048: D29600D6 0003BBDC
	v_cvt_pkrtz_f16_f32 v215, v222, v223                       // 00000000A050: D29600D7 0003BFDE
	v_cvt_pkrtz_f16_f32 v216, v224, v225                       // 00000000A058: D29600D8 0003C3E0
	v_cvt_pkrtz_f16_f32 v217, v226, v227                       // 00000000A060: D29600D9 0003C7E2
	v_cvt_pkrtz_f16_f32 v218, v228, v229                       // 00000000A068: D29600DA 0003CBE4
	v_cvt_pkrtz_f16_f32 v219, v230, v231                       // 00000000A070: D29600DB 0003CFE6
	v_cvt_pkrtz_f16_f32 v220, v232, v233                       // 00000000A078: D29600DC 0003D3E8
	v_cvt_pkrtz_f16_f32 v221, v234, v235                       // 00000000A080: D29600DD 0003D7EA
	v_cvt_pkrtz_f16_f32 v222, v236, v237                       // 00000000A088: D29600DE 0003DBEC
	v_cvt_pkrtz_f16_f32 v223, v238, v239                       // 00000000A090: D29600DF 0003DFEE
	s_cmp_ge_u32 s80, 0x200                                    // 00000000A098: BF09FF50 00000200
	s_cselect_b32 s59, 0x200, s59                              // 00000000A0A0: 853B3BFF 00000200
	s_setvskip s20, 0                                          // 00000000A0A8: BF108014
	global_atomic_pk_add_f16 v80, v64, s[8:9]                  // 00000000A0AC: DD388000 00084050
	s_setvskip 0, 0                                            // 00000000A0B4: BF108080
	s_setvskip s20, 0                                          // 00000000A0B8: BF108014
	global_atomic_pk_add_f16 v80, v65, s[8:9] offset:256       // 00000000A0BC: DD388100 00084150
	s_setvskip 0, 0                                            // 00000000A0C4: BF108080
	s_setvskip s20, 1                                          // 00000000A0C8: BF108114
	global_atomic_pk_add_f16 v82, v66, s[8:9]                  // 00000000A0CC: DD388000 00084252
	s_setvskip 0, 0                                            // 00000000A0D4: BF108080
	s_setvskip s20, 1                                          // 00000000A0D8: BF108114
	global_atomic_pk_add_f16 v82, v67, s[8:9] offset:256       // 00000000A0DC: DD388100 00084352
	s_setvskip 0, 0                                            // 00000000A0E4: BF108080
	s_setvskip s20, 2                                          // 00000000A0E8: BF108214
	global_atomic_pk_add_f16 v84, v68, s[8:9]                  // 00000000A0EC: DD388000 00084454
	s_setvskip 0, 0                                            // 00000000A0F4: BF108080
	s_setvskip s20, 2                                          // 00000000A0F8: BF108214
	global_atomic_pk_add_f16 v84, v69, s[8:9] offset:256       // 00000000A0FC: DD388100 00084554
	s_setvskip 0, 0                                            // 00000000A104: BF108080
	s_setvskip s20, 3                                          // 00000000A108: BF108314
	global_atomic_pk_add_f16 v86, v70, s[8:9]                  // 00000000A10C: DD388000 00084656
	s_setvskip 0, 0                                            // 00000000A114: BF108080
	s_setvskip s20, 3                                          // 00000000A118: BF108314
	global_atomic_pk_add_f16 v86, v71, s[8:9] offset:256       // 00000000A11C: DD388100 00084756
	s_setvskip 0, 0                                            // 00000000A124: BF108080
	s_setvskip s20, 4                                          // 00000000A128: BF108414
	global_atomic_pk_add_f16 v88, v72, s[8:9]                  // 00000000A12C: DD388000 00084858
	s_setvskip 0, 0                                            // 00000000A134: BF108080
	s_setvskip s20, 4                                          // 00000000A138: BF108414
	global_atomic_pk_add_f16 v88, v73, s[8:9] offset:256       // 00000000A13C: DD388100 00084958
	s_setvskip 0, 0                                            // 00000000A144: BF108080
	s_setvskip s20, 5                                          // 00000000A148: BF108514
	global_atomic_pk_add_f16 v90, v74, s[8:9]                  // 00000000A14C: DD388000 00084A5A
	s_setvskip 0, 0                                            // 00000000A154: BF108080
	s_setvskip s20, 5                                          // 00000000A158: BF108514
	global_atomic_pk_add_f16 v90, v75, s[8:9] offset:256       // 00000000A15C: DD388100 00084B5A
	s_setvskip 0, 0                                            // 00000000A164: BF108080
	s_setvskip s20, 6                                          // 00000000A168: BF108614
	global_atomic_pk_add_f16 v92, v76, s[8:9]                  // 00000000A16C: DD388000 00084C5C
	s_setvskip 0, 0                                            // 00000000A174: BF108080
	s_setvskip s20, 6                                          // 00000000A178: BF108614
	global_atomic_pk_add_f16 v92, v77, s[8:9] offset:256       // 00000000A17C: DD388100 00084D5C
	s_setvskip 0, 0                                            // 00000000A184: BF108080
	s_setvskip s20, 7                                          // 00000000A188: BF108714
	global_atomic_pk_add_f16 v94, v78, s[8:9]                  // 00000000A18C: DD388000 00084E5E
	s_setvskip 0, 0                                            // 00000000A194: BF108080
	s_setvskip s20, 7                                          // 00000000A198: BF108714
	global_atomic_pk_add_f16 v94, v79, s[8:9] offset:256       // 00000000A19C: DD388100 00084F5E
	s_setvskip 0, 0                                            // 00000000A1A4: BF108080
	s_add_u32 s8, s59, s8                                      // 00000000A1A8: 8008083B
	s_addc_u32 s9, 0, s9                                       // 00000000A1AC: 82090980
	s_addk_i32 s80, 0x100                                      // 00000000A1B0: B7500100
	s_cmp_lt_i32 s80, s81                                      // 00000000A1B4: BF045150
	s_cbranch_scc0 label_0FAF                                  // 00000000A1B8: BF84F2C0
	s_branch label_18A3                                        // 00000000A1BC: BF82FBB3

000000000000a1c0 <label_1CF0>:
	s_cmp_ge_u32 s59, 0                                        // 00000000A1C0: BF09803B
	s_cselect_b32 s59, 0x200, s59                              // 00000000A1C4: 853B3BFF 00000200
	s_waitcnt lgkmcnt(0)                                       // 00000000A1CC: BF8CC07F
	s_barrier                                                  // 00000000A1D0: BF8A0000
	s_cmp_eq_u32 s64, 0x100                                    // 00000000A1D4: BF06FF40 00000100
	s_cbranch_scc0 label_1D6C                                  // 00000000A1DC: BF840074
	ds_write_b64 v3, v[176:177] offset:18688                   // 00000000A1E0: D89A4900 0000B003
	ds_write_b64 v3, v[178:179] offset:27392                   // 00000000A1E8: D89A6B00 0000B203
	ds_write_b64 v3, v[180:181] offset:20864                   // 00000000A1F0: D89A5180 0000B403
	ds_write_b64 v3, v[182:183] offset:29568                   // 00000000A1F8: D89A7380 0000B603
	ds_write_b64 v3, v[184:185] offset:23040                   // 00000000A200: D89A5A00 0000B803
	ds_write_b64 v3, v[186:187] offset:31744                   // 00000000A208: D89A7C00 0000BA03
	ds_write_b64 v3, v[188:189] offset:25216                   // 00000000A210: D89A6280 0000BC03
	ds_write_b64 v3, v[190:191] offset:33920                   // 00000000A218: D89A8480 0000BE03
	s_waitcnt lgkmcnt(0)                                       // 00000000A220: BF8CC07F
	s_barrier                                                  // 00000000A224: BF8A0000
	ds_read_b32 v64, v4 offset:18688                           // 00000000A228: D86C4900 40000004
	ds_read_b32 v65, v4 offset:23040                           // 00000000A230: D86C5A00 41000004
	ds_read_b32 v66, v4 offset:18720                           // 00000000A238: D86C4920 42000004
	ds_read_b32 v67, v4 offset:23072                           // 00000000A240: D86C5A20 43000004
	ds_read_b32 v68, v4 offset:18752                           // 00000000A248: D86C4940 44000004
	ds_read_b32 v69, v4 offset:23104                           // 00000000A250: D86C5A40 45000004
	ds_read_b32 v70, v4 offset:18784                           // 00000000A258: D86C4960 46000004
	ds_read_b32 v71, v4 offset:23136                           // 00000000A260: D86C5A60 47000004
	ds_read_b32 v72, v4 offset:27392                           // 00000000A268: D86C6B00 48000004
	ds_read_b32 v73, v4 offset:31744                           // 00000000A270: D86C7C00 49000004
	ds_read_b32 v74, v4 offset:27424                           // 00000000A278: D86C6B20 4A000004
	ds_read_b32 v75, v4 offset:31776                           // 00000000A280: D86C7C20 4B000004
	ds_read_b32 v76, v4 offset:27456                           // 00000000A288: D86C6B40 4C000004
	ds_read_b32 v77, v4 offset:31808                           // 00000000A290: D86C7C40 4D000004
	ds_read_b32 v78, v4 offset:27488                           // 00000000A298: D86C6B60 4E000004
	ds_read_b32 v79, v4 offset:31840                           // 00000000A2A0: D86C7C60 4F000004
	s_waitcnt lgkmcnt(0)                                       // 00000000A2A8: BF8CC07F
	s_setvskip s20, 0                                          // 00000000A2AC: BF108014
	global_atomic_pk_add_f16 v80, v64, s[8:9]                  // 00000000A2B0: DD388000 00084050
	s_setvskip 0, 0                                            // 00000000A2B8: BF108080
	s_setvskip s20, 0                                          // 00000000A2BC: BF108014
	global_atomic_pk_add_f16 v80, v65, s[8:9] offset:256       // 00000000A2C0: DD388100 00084150
	s_setvskip 0, 0                                            // 00000000A2C8: BF108080
	s_setvskip s20, 1                                          // 00000000A2CC: BF108114
	global_atomic_pk_add_f16 v82, v66, s[8:9]                  // 00000000A2D0: DD388000 00084252
	s_setvskip 0, 0                                            // 00000000A2D8: BF108080
	s_setvskip s20, 1                                          // 00000000A2DC: BF108114
	global_atomic_pk_add_f16 v82, v67, s[8:9] offset:256       // 00000000A2E0: DD388100 00084352
	s_setvskip 0, 0                                            // 00000000A2E8: BF108080
	s_setvskip s20, 2                                          // 00000000A2EC: BF108214
	global_atomic_pk_add_f16 v84, v68, s[8:9]                  // 00000000A2F0: DD388000 00084454
	s_setvskip 0, 0                                            // 00000000A2F8: BF108080
	s_setvskip s20, 2                                          // 00000000A2FC: BF108214
	global_atomic_pk_add_f16 v84, v69, s[8:9] offset:256       // 00000000A300: DD388100 00084554
	s_setvskip 0, 0                                            // 00000000A308: BF108080
	s_setvskip s20, 3                                          // 00000000A30C: BF108314
	global_atomic_pk_add_f16 v86, v70, s[8:9]                  // 00000000A310: DD388000 00084656
	s_setvskip 0, 0                                            // 00000000A318: BF108080
	s_setvskip s20, 3                                          // 00000000A31C: BF108314
	global_atomic_pk_add_f16 v86, v71, s[8:9] offset:256       // 00000000A320: DD388100 00084756
	s_setvskip 0, 0                                            // 00000000A328: BF108080
	s_setvskip s20, 4                                          // 00000000A32C: BF108414
	global_atomic_pk_add_f16 v88, v72, s[8:9]                  // 00000000A330: DD388000 00084858
	s_setvskip 0, 0                                            // 00000000A338: BF108080
	s_setvskip s20, 4                                          // 00000000A33C: BF108414
	global_atomic_pk_add_f16 v88, v73, s[8:9] offset:256       // 00000000A340: DD388100 00084958
	s_setvskip 0, 0                                            // 00000000A348: BF108080
	s_setvskip s20, 5                                          // 00000000A34C: BF108514
	global_atomic_pk_add_f16 v90, v74, s[8:9]                  // 00000000A350: DD388000 00084A5A
	s_setvskip 0, 0                                            // 00000000A358: BF108080
	s_setvskip s20, 5                                          // 00000000A35C: BF108514
	global_atomic_pk_add_f16 v90, v75, s[8:9] offset:256       // 00000000A360: DD388100 00084B5A
	s_setvskip 0, 0                                            // 00000000A368: BF108080
	s_setvskip s20, 6                                          // 00000000A36C: BF108614
	global_atomic_pk_add_f16 v92, v76, s[8:9]                  // 00000000A370: DD388000 00084C5C
	s_setvskip 0, 0                                            // 00000000A378: BF108080
	s_setvskip s20, 6                                          // 00000000A37C: BF108614
	global_atomic_pk_add_f16 v92, v77, s[8:9] offset:256       // 00000000A380: DD388100 00084D5C
	s_setvskip 0, 0                                            // 00000000A388: BF108080
	s_setvskip s20, 7                                          // 00000000A38C: BF108714
	global_atomic_pk_add_f16 v94, v78, s[8:9]                  // 00000000A390: DD388000 00084E5E
	s_setvskip 0, 0                                            // 00000000A398: BF108080
	s_setvskip s20, 7                                          // 00000000A39C: BF108714
	global_atomic_pk_add_f16 v94, v79, s[8:9] offset:256       // 00000000A3A0: DD388100 00084F5E
	s_setvskip 0, 0                                            // 00000000A3A8: BF108080
	s_branch label_1E42                                        // 00000000A3AC: BF8200D6

000000000000a3b0 <label_1D6C>:
	ds_read_b32 v64, v4 offset:18688                           // 00000000A3B0: D86C4900 40000004
	ds_read_b32 v65, v4 offset:23040                           // 00000000A3B8: D86C5A00 41000004
	ds_read_b32 v66, v4 offset:18720                           // 00000000A3C0: D86C4920 42000004
	ds_read_b32 v67, v4 offset:23072                           // 00000000A3C8: D86C5A20 43000004
	ds_read_b32 v68, v4 offset:18752                           // 00000000A3D0: D86C4940 44000004
	ds_read_b32 v69, v4 offset:23104                           // 00000000A3D8: D86C5A40 45000004
	ds_read_b32 v70, v4 offset:18784                           // 00000000A3E0: D86C4960 46000004
	ds_read_b32 v71, v4 offset:23136                           // 00000000A3E8: D86C5A60 47000004
	ds_read_b32 v72, v4 offset:27392                           // 00000000A3F0: D86C6B00 48000004
	ds_read_b32 v73, v4 offset:31744                           // 00000000A3F8: D86C7C00 49000004
	ds_read_b32 v74, v4 offset:27424                           // 00000000A400: D86C6B20 4A000004
	ds_read_b32 v75, v4 offset:31776                           // 00000000A408: D86C7C20 4B000004
	ds_read_b32 v76, v4 offset:27456                           // 00000000A410: D86C6B40 4C000004
	ds_read_b32 v77, v4 offset:31808                           // 00000000A418: D86C7C40 4D000004
	ds_read_b32 v78, v4 offset:27488                           // 00000000A420: D86C6B60 4E000004
	ds_read_b32 v79, v4 offset:31840                           // 00000000A428: D86C7C60 4F000004
	s_waitcnt lgkmcnt(0)                                       // 00000000A430: BF8CC07F
	s_setvskip s20, 0                                          // 00000000A434: BF108014
	global_atomic_pk_add_f16 v80, v64, s[8:9]                  // 00000000A438: DD388000 00084050
	s_setvskip 0, 0                                            // 00000000A440: BF108080
	s_setvskip s20, 0                                          // 00000000A444: BF108014
	global_atomic_pk_add_f16 v80, v65, s[8:9] offset:256       // 00000000A448: DD388100 00084150
	s_setvskip 0, 0                                            // 00000000A450: BF108080
	s_setvskip s20, 1                                          // 00000000A454: BF108114
	global_atomic_pk_add_f16 v82, v66, s[8:9]                  // 00000000A458: DD388000 00084252
	s_setvskip 0, 0                                            // 00000000A460: BF108080
	s_setvskip s20, 1                                          // 00000000A464: BF108114
	global_atomic_pk_add_f16 v82, v67, s[8:9] offset:256       // 00000000A468: DD388100 00084352
	s_setvskip 0, 0                                            // 00000000A470: BF108080
	s_setvskip s20, 2                                          // 00000000A474: BF108214
	global_atomic_pk_add_f16 v84, v68, s[8:9]                  // 00000000A478: DD388000 00084454
	s_setvskip 0, 0                                            // 00000000A480: BF108080
	s_setvskip s20, 2                                          // 00000000A484: BF108214
	global_atomic_pk_add_f16 v84, v69, s[8:9] offset:256       // 00000000A488: DD388100 00084554
	s_setvskip 0, 0                                            // 00000000A490: BF108080
	s_setvskip s20, 3                                          // 00000000A494: BF108314
	global_atomic_pk_add_f16 v86, v70, s[8:9]                  // 00000000A498: DD388000 00084656
	s_setvskip 0, 0                                            // 00000000A4A0: BF108080
	s_setvskip s20, 3                                          // 00000000A4A4: BF108314
	global_atomic_pk_add_f16 v86, v71, s[8:9] offset:256       // 00000000A4A8: DD388100 00084756
	s_setvskip 0, 0                                            // 00000000A4B0: BF108080
	s_setvskip s20, 4                                          // 00000000A4B4: BF108414
	global_atomic_pk_add_f16 v88, v72, s[8:9]                  // 00000000A4B8: DD388000 00084858
	s_setvskip 0, 0                                            // 00000000A4C0: BF108080
	s_setvskip s20, 4                                          // 00000000A4C4: BF108414
	global_atomic_pk_add_f16 v88, v73, s[8:9] offset:256       // 00000000A4C8: DD388100 00084958
	s_setvskip 0, 0                                            // 00000000A4D0: BF108080
	s_setvskip s20, 5                                          // 00000000A4D4: BF108514
	global_atomic_pk_add_f16 v90, v74, s[8:9]                  // 00000000A4D8: DD388000 00084A5A
	s_setvskip 0, 0                                            // 00000000A4E0: BF108080
	s_setvskip s20, 5                                          // 00000000A4E4: BF108514
	global_atomic_pk_add_f16 v90, v75, s[8:9] offset:256       // 00000000A4E8: DD388100 00084B5A
	s_setvskip 0, 0                                            // 00000000A4F0: BF108080
	s_setvskip s20, 6                                          // 00000000A4F4: BF108614
	global_atomic_pk_add_f16 v92, v76, s[8:9]                  // 00000000A4F8: DD388000 00084C5C
	s_setvskip 0, 0                                            // 00000000A500: BF108080
	s_setvskip s20, 6                                          // 00000000A504: BF108614
	global_atomic_pk_add_f16 v92, v77, s[8:9] offset:256       // 00000000A508: DD388100 00084D5C
	s_setvskip 0, 0                                            // 00000000A510: BF108080
	s_setvskip s20, 7                                          // 00000000A514: BF108714
	global_atomic_pk_add_f16 v94, v78, s[8:9]                  // 00000000A518: DD388000 00084E5E
	s_setvskip 0, 0                                            // 00000000A520: BF108080
	s_setvskip s20, 7                                          // 00000000A524: BF108714
	global_atomic_pk_add_f16 v94, v79, s[8:9] offset:256       // 00000000A528: DD388100 00084F5E
	s_setvskip 0, 0                                            // 00000000A530: BF108080
	s_add_u32 s8, s59, s8                                      // 00000000A534: 8008083B
	s_addc_u32 s9, 0, s9                                       // 00000000A538: 82090980
	ds_write_b64 v3, v[208:209] offset:36096                   // 00000000A53C: D89A8D00 0000D003
	ds_write_b64 v3, v[210:211] offset:44800                   // 00000000A544: D89AAF00 0000D203
	ds_write_b64 v3, v[212:213] offset:38272                   // 00000000A54C: D89A9580 0000D403
	ds_write_b64 v3, v[214:215] offset:46976                   // 00000000A554: D89AB780 0000D603
	ds_write_b64 v3, v[216:217] offset:40448                   // 00000000A55C: D89A9E00 0000D803
	ds_write_b64 v3, v[218:219] offset:49152                   // 00000000A564: D89AC000 0000DA03
	ds_write_b64 v3, v[220:221] offset:42624                   // 00000000A56C: D89AA680 0000DC03
	ds_write_b64 v3, v[222:223] offset:51328                   // 00000000A574: D89AC880 0000DE03
	s_waitcnt lgkmcnt(0)                                       // 00000000A57C: BF8CC07F
	s_barrier                                                  // 00000000A580: BF8A0000
	ds_read_b32 v64, v4 offset:36096                           // 00000000A584: D86C8D00 40000004
	ds_read_b32 v65, v4 offset:40448                           // 00000000A58C: D86C9E00 41000004
	ds_read_b32 v66, v4 offset:36128                           // 00000000A594: D86C8D20 42000004
	ds_read_b32 v67, v4 offset:40480                           // 00000000A59C: D86C9E20 43000004
	ds_read_b32 v68, v4 offset:36160                           // 00000000A5A4: D86C8D40 44000004
	ds_read_b32 v69, v4 offset:40512                           // 00000000A5AC: D86C9E40 45000004
	ds_read_b32 v70, v4 offset:36192                           // 00000000A5B4: D86C8D60 46000004
	ds_read_b32 v71, v4 offset:40544                           // 00000000A5BC: D86C9E60 47000004
	ds_read_b32 v72, v4 offset:44800                           // 00000000A5C4: D86CAF00 48000004
	ds_read_b32 v73, v4 offset:49152                           // 00000000A5CC: D86CC000 49000004
	ds_read_b32 v74, v4 offset:44832                           // 00000000A5D4: D86CAF20 4A000004
	ds_read_b32 v75, v4 offset:49184                           // 00000000A5DC: D86CC020 4B000004
	ds_read_b32 v76, v4 offset:44864                           // 00000000A5E4: D86CAF40 4C000004
	ds_read_b32 v77, v4 offset:49216                           // 00000000A5EC: D86CC040 4D000004
	ds_read_b32 v78, v4 offset:44896                           // 00000000A5F4: D86CAF60 4E000004
	ds_read_b32 v79, v4 offset:49248                           // 00000000A5FC: D86CC060 4F000004
	s_waitcnt lgkmcnt(0)                                       // 00000000A604: BF8CC07F
	s_setvskip s20, 0                                          // 00000000A608: BF108014
	global_atomic_pk_add_f16 v80, v64, s[8:9]                  // 00000000A60C: DD388000 00084050
	s_setvskip 0, 0                                            // 00000000A614: BF108080
	s_setvskip s20, 0                                          // 00000000A618: BF108014
	global_atomic_pk_add_f16 v80, v65, s[8:9] offset:256       // 00000000A61C: DD388100 00084150
	s_setvskip 0, 0                                            // 00000000A624: BF108080
	s_setvskip s20, 1                                          // 00000000A628: BF108114
	global_atomic_pk_add_f16 v82, v66, s[8:9]                  // 00000000A62C: DD388000 00084252
	s_setvskip 0, 0                                            // 00000000A634: BF108080
	s_setvskip s20, 1                                          // 00000000A638: BF108114
	global_atomic_pk_add_f16 v82, v67, s[8:9] offset:256       // 00000000A63C: DD388100 00084352
	s_setvskip 0, 0                                            // 00000000A644: BF108080
	s_setvskip s20, 2                                          // 00000000A648: BF108214
	global_atomic_pk_add_f16 v84, v68, s[8:9]                  // 00000000A64C: DD388000 00084454
	s_setvskip 0, 0                                            // 00000000A654: BF108080
	s_setvskip s20, 2                                          // 00000000A658: BF108214
	global_atomic_pk_add_f16 v84, v69, s[8:9] offset:256       // 00000000A65C: DD388100 00084554
	s_setvskip 0, 0                                            // 00000000A664: BF108080
	s_setvskip s20, 3                                          // 00000000A668: BF108314
	global_atomic_pk_add_f16 v86, v70, s[8:9]                  // 00000000A66C: DD388000 00084656
	s_setvskip 0, 0                                            // 00000000A674: BF108080
	s_setvskip s20, 3                                          // 00000000A678: BF108314
	global_atomic_pk_add_f16 v86, v71, s[8:9] offset:256       // 00000000A67C: DD388100 00084756
	s_setvskip 0, 0                                            // 00000000A684: BF108080
	s_setvskip s20, 4                                          // 00000000A688: BF108414
	global_atomic_pk_add_f16 v88, v72, s[8:9]                  // 00000000A68C: DD388000 00084858
	s_setvskip 0, 0                                            // 00000000A694: BF108080
	s_setvskip s20, 4                                          // 00000000A698: BF108414
	global_atomic_pk_add_f16 v88, v73, s[8:9] offset:256       // 00000000A69C: DD388100 00084958
	s_setvskip 0, 0                                            // 00000000A6A4: BF108080
	s_setvskip s20, 5                                          // 00000000A6A8: BF108514
	global_atomic_pk_add_f16 v90, v74, s[8:9]                  // 00000000A6AC: DD388000 00084A5A
	s_setvskip 0, 0                                            // 00000000A6B4: BF108080
	s_setvskip s20, 5                                          // 00000000A6B8: BF108514
	global_atomic_pk_add_f16 v90, v75, s[8:9] offset:256       // 00000000A6BC: DD388100 00084B5A
	s_setvskip 0, 0                                            // 00000000A6C4: BF108080
	s_setvskip s20, 6                                          // 00000000A6C8: BF108614
	global_atomic_pk_add_f16 v92, v76, s[8:9]                  // 00000000A6CC: DD388000 00084C5C
	s_setvskip 0, 0                                            // 00000000A6D4: BF108080
	s_setvskip s20, 6                                          // 00000000A6D8: BF108614
	global_atomic_pk_add_f16 v92, v77, s[8:9] offset:256       // 00000000A6DC: DD388100 00084D5C
	s_setvskip 0, 0                                            // 00000000A6E4: BF108080
	s_setvskip s20, 7                                          // 00000000A6E8: BF108714
	global_atomic_pk_add_f16 v94, v78, s[8:9]                  // 00000000A6EC: DD388000 00084E5E
	s_setvskip 0, 0                                            // 00000000A6F4: BF108080
	s_setvskip s20, 7                                          // 00000000A6F8: BF108714
	global_atomic_pk_add_f16 v94, v79, s[8:9] offset:256       // 00000000A6FC: DD388100 00084F5E
	s_setvskip 0, 0                                            // 00000000A704: BF108080

000000000000a708 <label_1E42>:
	s_waitcnt vmcnt(0) expcnt(0) lgkmcnt(0)                    // 00000000A708: BF8C0000
	s_endpgm                                                   // 00000000A70C: BF810000
